;; amdgpu-corpus repo=ROCm/rocFFT kind=compiled arch=gfx906 opt=O3
	.text
	.amdgcn_target "amdgcn-amd-amdhsa--gfx906"
	.amdhsa_code_object_version 6
	.protected	fft_rtc_back_len663_factors_17_13_3_wgs_51_tpt_51_sp_op_CI_CI_sbrr_dirReg ; -- Begin function fft_rtc_back_len663_factors_17_13_3_wgs_51_tpt_51_sp_op_CI_CI_sbrr_dirReg
	.globl	fft_rtc_back_len663_factors_17_13_3_wgs_51_tpt_51_sp_op_CI_CI_sbrr_dirReg
	.p2align	8
	.type	fft_rtc_back_len663_factors_17_13_3_wgs_51_tpt_51_sp_op_CI_CI_sbrr_dirReg,@function
fft_rtc_back_len663_factors_17_13_3_wgs_51_tpt_51_sp_op_CI_CI_sbrr_dirReg: ; @fft_rtc_back_len663_factors_17_13_3_wgs_51_tpt_51_sp_op_CI_CI_sbrr_dirReg
; %bb.0:
	s_load_dwordx4 s[16:19], s[4:5], 0x18
	s_load_dwordx4 s[8:11], s[4:5], 0x0
	;; [unrolled: 1-line block ×3, first 2 shown]
	v_mul_u32_u24_e32 v1, 0x506, v0
	v_mov_b32_e32 v4, 0
	s_waitcnt lgkmcnt(0)
	s_load_dwordx2 s[22:23], s[16:17], 0x0
	s_load_dwordx2 s[20:21], s[18:19], 0x0
	v_cmp_lt_u64_e64 s[0:1], s[10:11], 2
	v_mov_b32_e32 v2, 0
	v_add_u32_sdwa v6, s6, v1 dst_sel:DWORD dst_unused:UNUSED_PAD src0_sel:DWORD src1_sel:WORD_1
	v_mov_b32_e32 v7, v4
	s_and_b64 vcc, exec, s[0:1]
	v_mov_b32_e32 v3, 0
	s_cbranch_vccnz .LBB0_8
; %bb.1:
	s_load_dwordx2 s[0:1], s[4:5], 0x10
	s_add_u32 s2, s18, 8
	s_addc_u32 s3, s19, 0
	s_add_u32 s6, s16, 8
	v_mov_b32_e32 v2, 0
	s_addc_u32 s7, s17, 0
	v_mov_b32_e32 v3, 0
	s_waitcnt lgkmcnt(0)
	s_add_u32 s24, s0, 8
	v_mov_b32_e32 v29, v3
	s_addc_u32 s25, s1, 0
	s_mov_b64 s[26:27], 1
	v_mov_b32_e32 v28, v2
.LBB0_2:                                ; =>This Inner Loop Header: Depth=1
	s_load_dwordx2 s[28:29], s[24:25], 0x0
                                        ; implicit-def: $vgpr30_vgpr31
	s_waitcnt lgkmcnt(0)
	v_or_b32_e32 v5, s29, v7
	v_cmp_ne_u64_e32 vcc, 0, v[4:5]
	s_and_saveexec_b64 s[0:1], vcc
	s_xor_b64 s[30:31], exec, s[0:1]
	s_cbranch_execz .LBB0_4
; %bb.3:                                ;   in Loop: Header=BB0_2 Depth=1
	v_cvt_f32_u32_e32 v1, s28
	v_cvt_f32_u32_e32 v5, s29
	s_sub_u32 s0, 0, s28
	s_subb_u32 s1, 0, s29
	v_mac_f32_e32 v1, 0x4f800000, v5
	v_rcp_f32_e32 v1, v1
	v_mul_f32_e32 v1, 0x5f7ffffc, v1
	v_mul_f32_e32 v5, 0x2f800000, v1
	v_trunc_f32_e32 v5, v5
	v_mac_f32_e32 v1, 0xcf800000, v5
	v_cvt_u32_f32_e32 v5, v5
	v_cvt_u32_f32_e32 v1, v1
	v_mul_lo_u32 v8, s0, v5
	v_mul_hi_u32 v9, s0, v1
	v_mul_lo_u32 v11, s1, v1
	v_mul_lo_u32 v10, s0, v1
	v_add_u32_e32 v8, v9, v8
	v_add_u32_e32 v8, v8, v11
	v_mul_hi_u32 v9, v1, v10
	v_mul_lo_u32 v11, v1, v8
	v_mul_hi_u32 v13, v1, v8
	v_mul_hi_u32 v12, v5, v10
	v_mul_lo_u32 v10, v5, v10
	v_mul_hi_u32 v14, v5, v8
	v_add_co_u32_e32 v9, vcc, v9, v11
	v_addc_co_u32_e32 v11, vcc, 0, v13, vcc
	v_mul_lo_u32 v8, v5, v8
	v_add_co_u32_e32 v9, vcc, v9, v10
	v_addc_co_u32_e32 v9, vcc, v11, v12, vcc
	v_addc_co_u32_e32 v10, vcc, 0, v14, vcc
	v_add_co_u32_e32 v8, vcc, v9, v8
	v_addc_co_u32_e32 v9, vcc, 0, v10, vcc
	v_add_co_u32_e32 v1, vcc, v1, v8
	v_addc_co_u32_e32 v5, vcc, v5, v9, vcc
	v_mul_lo_u32 v8, s0, v5
	v_mul_hi_u32 v9, s0, v1
	v_mul_lo_u32 v10, s1, v1
	v_mul_lo_u32 v11, s0, v1
	v_add_u32_e32 v8, v9, v8
	v_add_u32_e32 v8, v8, v10
	v_mul_lo_u32 v12, v1, v8
	v_mul_hi_u32 v13, v1, v11
	v_mul_hi_u32 v14, v1, v8
	;; [unrolled: 1-line block ×3, first 2 shown]
	v_mul_lo_u32 v11, v5, v11
	v_mul_hi_u32 v9, v5, v8
	v_add_co_u32_e32 v12, vcc, v13, v12
	v_addc_co_u32_e32 v13, vcc, 0, v14, vcc
	v_mul_lo_u32 v8, v5, v8
	v_add_co_u32_e32 v11, vcc, v12, v11
	v_addc_co_u32_e32 v10, vcc, v13, v10, vcc
	v_addc_co_u32_e32 v9, vcc, 0, v9, vcc
	v_add_co_u32_e32 v8, vcc, v10, v8
	v_addc_co_u32_e32 v9, vcc, 0, v9, vcc
	v_add_co_u32_e32 v1, vcc, v1, v8
	v_addc_co_u32_e32 v5, vcc, v5, v9, vcc
	v_mad_u64_u32 v[8:9], s[0:1], v6, v5, 0
	v_mul_hi_u32 v10, v6, v1
	v_add_co_u32_e32 v12, vcc, v10, v8
	v_addc_co_u32_e32 v13, vcc, 0, v9, vcc
	v_mad_u64_u32 v[8:9], s[0:1], v7, v1, 0
	v_mad_u64_u32 v[10:11], s[0:1], v7, v5, 0
	v_add_co_u32_e32 v1, vcc, v12, v8
	v_addc_co_u32_e32 v1, vcc, v13, v9, vcc
	v_addc_co_u32_e32 v5, vcc, 0, v11, vcc
	v_add_co_u32_e32 v1, vcc, v1, v10
	v_addc_co_u32_e32 v5, vcc, 0, v5, vcc
	v_mul_lo_u32 v10, s29, v1
	v_mul_lo_u32 v11, s28, v5
	v_mad_u64_u32 v[8:9], s[0:1], s28, v1, 0
	v_add3_u32 v9, v9, v11, v10
	v_sub_u32_e32 v10, v7, v9
	v_mov_b32_e32 v11, s29
	v_sub_co_u32_e32 v8, vcc, v6, v8
	v_subb_co_u32_e64 v10, s[0:1], v10, v11, vcc
	v_subrev_co_u32_e64 v11, s[0:1], s28, v8
	v_subbrev_co_u32_e64 v10, s[0:1], 0, v10, s[0:1]
	v_cmp_le_u32_e64 s[0:1], s29, v10
	v_cndmask_b32_e64 v12, 0, -1, s[0:1]
	v_cmp_le_u32_e64 s[0:1], s28, v11
	v_cndmask_b32_e64 v11, 0, -1, s[0:1]
	v_cmp_eq_u32_e64 s[0:1], s29, v10
	v_cndmask_b32_e64 v10, v12, v11, s[0:1]
	v_add_co_u32_e64 v11, s[0:1], 2, v1
	v_addc_co_u32_e64 v12, s[0:1], 0, v5, s[0:1]
	v_add_co_u32_e64 v13, s[0:1], 1, v1
	v_addc_co_u32_e64 v14, s[0:1], 0, v5, s[0:1]
	v_subb_co_u32_e32 v9, vcc, v7, v9, vcc
	v_cmp_ne_u32_e64 s[0:1], 0, v10
	v_cmp_le_u32_e32 vcc, s29, v9
	v_cndmask_b32_e64 v10, v14, v12, s[0:1]
	v_cndmask_b32_e64 v12, 0, -1, vcc
	v_cmp_le_u32_e32 vcc, s28, v8
	v_cndmask_b32_e64 v8, 0, -1, vcc
	v_cmp_eq_u32_e32 vcc, s29, v9
	v_cndmask_b32_e32 v8, v12, v8, vcc
	v_cmp_ne_u32_e32 vcc, 0, v8
	v_cndmask_b32_e32 v31, v5, v10, vcc
	v_cndmask_b32_e64 v5, v13, v11, s[0:1]
	v_cndmask_b32_e32 v30, v1, v5, vcc
.LBB0_4:                                ;   in Loop: Header=BB0_2 Depth=1
	s_andn2_saveexec_b64 s[0:1], s[30:31]
	s_cbranch_execz .LBB0_6
; %bb.5:                                ;   in Loop: Header=BB0_2 Depth=1
	v_cvt_f32_u32_e32 v1, s28
	s_sub_i32 s30, 0, s28
	v_mov_b32_e32 v31, v4
	v_rcp_iflag_f32_e32 v1, v1
	v_mul_f32_e32 v1, 0x4f7ffffe, v1
	v_cvt_u32_f32_e32 v1, v1
	v_mul_lo_u32 v5, s30, v1
	v_mul_hi_u32 v5, v1, v5
	v_add_u32_e32 v1, v1, v5
	v_mul_hi_u32 v1, v6, v1
	v_mul_lo_u32 v5, v1, s28
	v_add_u32_e32 v8, 1, v1
	v_sub_u32_e32 v5, v6, v5
	v_subrev_u32_e32 v9, s28, v5
	v_cmp_le_u32_e32 vcc, s28, v5
	v_cndmask_b32_e32 v5, v5, v9, vcc
	v_cndmask_b32_e32 v1, v1, v8, vcc
	v_add_u32_e32 v8, 1, v1
	v_cmp_le_u32_e32 vcc, s28, v5
	v_cndmask_b32_e32 v30, v1, v8, vcc
.LBB0_6:                                ;   in Loop: Header=BB0_2 Depth=1
	s_or_b64 exec, exec, s[0:1]
	v_mul_lo_u32 v1, v31, s28
	v_mul_lo_u32 v5, v30, s29
	v_mad_u64_u32 v[8:9], s[0:1], v30, s28, 0
	s_load_dwordx2 s[0:1], s[6:7], 0x0
	s_load_dwordx2 s[28:29], s[2:3], 0x0
	v_add3_u32 v1, v9, v5, v1
	v_sub_co_u32_e32 v5, vcc, v6, v8
	v_subb_co_u32_e32 v1, vcc, v7, v1, vcc
	s_waitcnt lgkmcnt(0)
	v_mul_lo_u32 v6, s0, v1
	v_mul_lo_u32 v7, s1, v5
	v_mad_u64_u32 v[2:3], s[0:1], s0, v5, v[2:3]
	s_add_u32 s26, s26, 1
	s_addc_u32 s27, s27, 0
	s_add_u32 s2, s2, 8
	v_mul_lo_u32 v1, s28, v1
	v_mul_lo_u32 v8, s29, v5
	v_mad_u64_u32 v[28:29], s[0:1], s28, v5, v[28:29]
	v_add3_u32 v3, v7, v3, v6
	s_addc_u32 s3, s3, 0
	v_mov_b32_e32 v5, s10
	s_add_u32 s6, s6, 8
	v_mov_b32_e32 v6, s11
	s_addc_u32 s7, s7, 0
	v_cmp_ge_u64_e32 vcc, s[26:27], v[5:6]
	s_add_u32 s24, s24, 8
	v_add3_u32 v29, v8, v29, v1
	s_addc_u32 s25, s25, 0
	s_cbranch_vccnz .LBB0_9
; %bb.7:                                ;   in Loop: Header=BB0_2 Depth=1
	v_mov_b32_e32 v6, v30
	v_mov_b32_e32 v7, v31
	s_branch .LBB0_2
.LBB0_8:
	v_mov_b32_e32 v29, v3
	v_mov_b32_e32 v31, v7
	;; [unrolled: 1-line block ×4, first 2 shown]
.LBB0_9:
	s_load_dwordx2 s[0:1], s[4:5], 0x28
	s_mov_b32 s4, 0x5050506
	v_mul_hi_u32 v1, v0, s4
	s_lshl_b64 s[2:3], s[10:11], 3
	s_add_u32 s4, s18, s2
	s_waitcnt lgkmcnt(0)
	v_cmp_gt_u64_e32 vcc, s[0:1], v[30:31]
	v_mul_u32_u24_e32 v1, 51, v1
	v_sub_u32_e32 v46, v0, v1
	v_cmp_gt_u32_e64 s[0:1], 39, v46
	s_addc_u32 s5, s19, s3
	s_and_b64 s[10:11], vcc, s[0:1]
	v_mov_b32_e32 v1, 0
	v_mov_b32_e32 v0, 0
                                        ; implicit-def: $vgpr9
                                        ; implicit-def: $vgpr11
                                        ; implicit-def: $vgpr13
                                        ; implicit-def: $vgpr15
                                        ; implicit-def: $vgpr17
                                        ; implicit-def: $vgpr19
                                        ; implicit-def: $vgpr21
                                        ; implicit-def: $vgpr23
                                        ; implicit-def: $vgpr27
                                        ; implicit-def: $vgpr39
                                        ; implicit-def: $vgpr25
                                        ; implicit-def: $vgpr35
                                        ; implicit-def: $vgpr37
                                        ; implicit-def: $vgpr41
                                        ; implicit-def: $vgpr43
                                        ; implicit-def: $vgpr45
	s_and_saveexec_b64 s[6:7], s[10:11]
	s_cbranch_execz .LBB0_11
; %bb.10:
	s_add_u32 s2, s16, s2
	s_addc_u32 s3, s17, s3
	s_load_dwordx2 s[2:3], s[2:3], 0x0
	v_mad_u64_u32 v[0:1], s[10:11], s22, v46, 0
	s_waitcnt lgkmcnt(0)
	v_mul_lo_u32 v8, s3, v30
	v_mul_lo_u32 v9, s2, v31
	v_mad_u64_u32 v[4:5], s[2:3], s2, v30, 0
	v_mad_u64_u32 v[6:7], s[2:3], s23, v46, v[1:2]
	v_add3_u32 v5, v5, v9, v8
	v_lshlrev_b64 v[4:5], 3, v[4:5]
	v_mov_b32_e32 v1, v6
	v_mov_b32_e32 v6, s13
	v_add_co_u32_e64 v7, s[2:3], s12, v4
	v_add_u32_e32 v8, 39, v46
	v_addc_co_u32_e64 v6, s[2:3], v6, v5, s[2:3]
	v_mad_u64_u32 v[4:5], s[2:3], s22, v8, 0
	v_lshlrev_b64 v[2:3], 3, v[2:3]
	v_lshlrev_b64 v[0:1], 3, v[0:1]
	v_add_co_u32_e64 v9, s[2:3], v7, v2
	v_mov_b32_e32 v2, v5
	v_addc_co_u32_e64 v10, s[2:3], v6, v3, s[2:3]
	v_mad_u64_u32 v[2:3], s[2:3], s23, v8, v[2:3]
	v_add_u32_e32 v3, 0x4e, v46
	v_mad_u64_u32 v[6:7], s[2:3], s22, v3, 0
	v_add_co_u32_e64 v26, s[2:3], v9, v0
	v_mov_b32_e32 v5, v2
	v_mov_b32_e32 v2, v7
	v_addc_co_u32_e64 v27, s[2:3], v10, v1, s[2:3]
	v_lshlrev_b64 v[0:1], 3, v[4:5]
	v_mad_u64_u32 v[2:3], s[2:3], s23, v3, v[2:3]
	v_add_u32_e32 v5, 0x75, v46
	v_mad_u64_u32 v[3:4], s[2:3], s22, v5, 0
	v_add_co_u32_e64 v32, s[2:3], v9, v0
	v_mov_b32_e32 v7, v2
	v_mov_b32_e32 v2, v4
	v_addc_co_u32_e64 v33, s[2:3], v10, v1, s[2:3]
	v_lshlrev_b64 v[0:1], 3, v[6:7]
	v_mad_u64_u32 v[4:5], s[2:3], s23, v5, v[2:3]
	v_add_u32_e32 v7, 0x9c, v46
	v_mad_u64_u32 v[5:6], s[2:3], s22, v7, 0
	v_add_co_u32_e64 v38, s[2:3], v9, v0
	v_mov_b32_e32 v2, v6
	v_addc_co_u32_e64 v39, s[2:3], v10, v1, s[2:3]
	v_lshlrev_b64 v[0:1], 3, v[3:4]
	v_mad_u64_u32 v[2:3], s[2:3], s23, v7, v[2:3]
	v_add_u32_e32 v7, 0xc3, v46
	v_mad_u64_u32 v[3:4], s[2:3], s22, v7, 0
	v_add_co_u32_e64 v47, s[2:3], v9, v0
	v_mov_b32_e32 v6, v2
	v_mov_b32_e32 v2, v4
	v_addc_co_u32_e64 v48, s[2:3], v10, v1, s[2:3]
	v_lshlrev_b64 v[0:1], 3, v[5:6]
	v_mad_u64_u32 v[4:5], s[2:3], s23, v7, v[2:3]
	v_add_u32_e32 v7, 0xea, v46
	v_mad_u64_u32 v[5:6], s[2:3], s22, v7, 0
	v_add_co_u32_e64 v49, s[2:3], v9, v0
	;; [unrolled: 15-line block ×7, first 2 shown]
	v_mov_b32_e32 v2, v6
	v_addc_co_u32_e64 v70, s[2:3], v10, v1, s[2:3]
	v_lshlrev_b64 v[0:1], 3, v[3:4]
	v_mad_u64_u32 v[2:3], s[2:3], s23, v7, v[2:3]
	v_add_co_u32_e64 v3, s[2:3], v9, v0
	v_mov_b32_e32 v6, v2
	v_addc_co_u32_e64 v4, s[2:3], v10, v1, s[2:3]
	v_lshlrev_b64 v[0:1], 3, v[5:6]
	v_add_co_u32_e64 v5, s[2:3], v9, v0
	v_addc_co_u32_e64 v6, s[2:3], v10, v1, s[2:3]
	global_load_dwordx2 v[0:1], v[26:27], off
	global_load_dwordx2 v[8:9], v[32:33], off
	;; [unrolled: 1-line block ×15, first 2 shown]
                                        ; kill: killed $vgpr53 killed $vgpr54
                                        ; kill: killed $vgpr32 killed $vgpr33
                                        ; kill: killed $vgpr67 killed $vgpr68
                                        ; kill: killed $vgpr57 killed $vgpr58
                                        ; kill: killed $vgpr47 killed $vgpr48
                                        ; kill: killed $vgpr61 killed $vgpr62
                                        ; kill: killed $vgpr51 killed $vgpr52
                                        ; kill: killed $vgpr26 killed $vgpr27
                                        ; kill: killed $vgpr65 killed $vgpr66
                                        ; kill: killed $vgpr55 killed $vgpr56
                                        ; kill: killed $vgpr38 killed $vgpr39
                                        ; kill: killed $vgpr69 killed $vgpr70
                                        ; kill: killed $vgpr59 killed $vgpr60
                                        ; kill: killed $vgpr49 killed $vgpr50
                                        ; kill: killed $vgpr63 killed $vgpr64
	global_load_dwordx2 v[38:39], v[3:4], off
	global_load_dwordx2 v[26:27], v[5:6], off
.LBB0_11:
	s_or_b64 exec, exec, s[6:7]
	s_waitcnt vmcnt(0)
	v_sub_f32_e32 v63, v9, v27
	v_add_f32_e32 v47, v8, v26
	s_mov_b32 s6, 0x3ee437d1
	v_mul_f32_e32 v73, 0xbf65296c, v63
	v_sub_f32_e32 v64, v11, v39
	v_sub_f32_e32 v65, v8, v26
	v_fma_f32 v2, v47, s6, -v73
	v_add_f32_e32 v48, v10, v38
	s_mov_b32 s7, 0xbf1a4643
	v_mul_f32_e32 v76, 0xbf4c4adb, v64
	v_add_f32_e32 v2, v0, v2
	v_fma_f32 v3, v48, s7, -v76
	v_mul_f32_e32 v82, 0xbf65296c, v65
	v_sub_f32_e32 v67, v10, v38
	v_add_f32_e32 v49, v9, v27
	v_add_f32_e32 v2, v2, v3
	v_mov_b32_e32 v3, v82
	v_mul_f32_e32 v83, 0xbf4c4adb, v67
	v_fmac_f32_e32 v3, 0x3ee437d1, v49
	v_add_f32_e32 v51, v11, v39
	v_mov_b32_e32 v4, v83
	v_sub_f32_e32 v66, v13, v25
	v_add_f32_e32 v3, v1, v3
	v_fmac_f32_e32 v4, 0xbf1a4643, v51
	s_mov_b32 s10, 0xbf7ba420
	v_add_f32_e32 v50, v12, v24
	v_mul_f32_e32 v80, 0x3e3c28d5, v66
	v_sub_f32_e32 v69, v12, v24
	v_add_f32_e32 v3, v3, v4
	v_fma_f32 v4, v50, s10, -v80
	v_mul_f32_e32 v85, 0x3e3c28d5, v69
	v_add_f32_e32 v2, v2, v4
	v_add_f32_e32 v53, v13, v25
	v_mov_b32_e32 v4, v85
	v_sub_f32_e32 v68, v15, v35
	v_fmac_f32_e32 v4, 0xbf7ba420, v53
	s_mov_b32 s11, 0xbe8c1d8e
	v_add_f32_e32 v52, v14, v34
	v_mul_f32_e32 v84, 0x3f763a35, v68
	v_sub_f32_e32 v71, v14, v34
	v_add_f32_e32 v3, v3, v4
	v_fma_f32 v4, v52, s11, -v84
	v_mul_f32_e32 v87, 0x3f763a35, v71
	v_add_f32_e32 v2, v2, v4
	v_add_f32_e32 v55, v15, v35
	v_mov_b32_e32 v4, v87
	v_sub_f32_e32 v70, v17, v37
	;; [unrolled: 12-line block ×5, first 2 shown]
	v_fmac_f32_e32 v4, 0x3dbcf732, v61
	s_mov_b32 s17, 0xbf59a7d5
	v_add_f32_e32 v60, v22, v44
	v_mul_f32_e32 v103, 0xbf06c442, v78
	v_sub_f32_e32 v79, v22, v44
	v_add_f32_e32 v3, v3, v4
	v_fma_f32 v4, v60, s17, -v103
	v_mul_f32_e32 v125, 0xbf06c442, v79
	v_add_f32_e32 v32, v2, v4
	v_add_f32_e32 v62, v23, v45
	v_mov_b32_e32 v2, v125
	v_fmac_f32_e32 v2, 0xbf59a7d5, v62
	v_mul_f32_e32 v127, 0xbf7ee86f, v63
	v_add_f32_e32 v33, v3, v2
	v_fma_f32 v2, v47, s16, -v127
	v_mul_f32_e32 v128, 0xbe3c28d5, v64
	v_add_f32_e32 v2, v0, v2
	v_fma_f32 v3, v48, s10, -v128
	v_mul_f32_e32 v134, 0xbf7ee86f, v65
	v_add_f32_e32 v2, v2, v3
	v_mov_b32_e32 v3, v134
	v_mul_f32_e32 v135, 0xbe3c28d5, v67
	v_fmac_f32_e32 v3, 0x3dbcf732, v49
	v_mov_b32_e32 v4, v135
	v_add_f32_e32 v3, v1, v3
	v_fmac_f32_e32 v4, 0xbf7ba420, v51
	v_mul_f32_e32 v129, 0x3f763a35, v66
	v_add_f32_e32 v3, v3, v4
	v_fma_f32 v4, v50, s11, -v129
	v_mul_f32_e32 v136, 0x3f763a35, v69
	v_add_f32_e32 v2, v2, v4
	v_mov_b32_e32 v4, v136
	v_fmac_f32_e32 v4, 0xbe8c1d8e, v53
	v_mul_f32_e32 v130, 0x3eb8f4ab, v68
	v_add_f32_e32 v3, v3, v4
	v_fma_f32 v4, v52, s13, -v130
	v_mul_f32_e32 v138, 0x3eb8f4ab, v71
	v_add_f32_e32 v2, v2, v4
	v_mov_b32_e32 v4, v138
	;; [unrolled: 7-line block ×5, first 2 shown]
	v_fmac_f32_e32 v4, 0xbf1a4643, v61
	v_mul_f32_e32 v142, 0x3f2c7751, v79
	v_add_f32_e32 v3, v3, v4
	v_mov_b32_e32 v4, v142
	v_mul_f32_e32 v137, 0x3f2c7751, v78
	v_fmac_f32_e32 v4, 0x3f3d2fb0, v62
	v_fma_f32 v5, v60, s12, -v137
	v_add_f32_e32 v2, v2, v5
	v_add_f32_e32 v3, v3, v4
	s_and_saveexec_b64 s[2:3], s[0:1]
	s_cbranch_execz .LBB0_13
; %bb.12:
	v_mul_f32_e32 v92, 0xbe3c28d5, v65
	v_fma_f32 v4, v49, s10, -v92
	v_mul_f32_e32 v93, 0x3eb8f4ab, v67
	v_add_f32_e32 v4, v1, v4
	v_fma_f32 v5, v51, s13, -v93
	v_mul_f32_e32 v94, 0xbf06c442, v69
	v_add_f32_e32 v4, v4, v5
	;; [unrolled: 3-line block ×7, first 2 shown]
	v_mov_b32_e32 v5, v99
	v_mul_f32_e32 v100, 0x3eb8f4ab, v64
	v_fmac_f32_e32 v5, 0xbf7ba420, v47
	v_mov_b32_e32 v6, v100
	v_add_f32_e32 v5, v0, v5
	v_fmac_f32_e32 v6, 0x3f6eb680, v48
	v_mul_f32_e32 v101, 0xbf06c442, v66
	v_add_f32_e32 v5, v5, v6
	v_mov_b32_e32 v6, v101
	v_fmac_f32_e32 v6, 0xbf59a7d5, v50
	v_mul_f32_e32 v102, 0x3f2c7751, v68
	v_add_f32_e32 v5, v5, v6
	v_mov_b32_e32 v6, v102
	;; [unrolled: 4-line block ×5, first 2 shown]
	v_add_f32_e32 v8, v0, v8
	v_fmac_f32_e32 v6, 0xbe8c1d8e, v58
	v_mul_f32_e32 v107, 0x3f7ee86f, v79
	v_add_f32_e32 v9, v1, v9
	v_add_f32_e32 v8, v8, v10
	;; [unrolled: 1-line block ×3, first 2 shown]
	v_fma_f32 v5, v62, s16, -v107
	v_mul_f32_e32 v108, 0x3f7ee86f, v78
	v_add_f32_e32 v9, v9, v11
	v_add_f32_e32 v8, v8, v12
	;; [unrolled: 1-line block ×3, first 2 shown]
	v_mov_b32_e32 v4, v108
	v_add_f32_e32 v9, v9, v13
	v_add_f32_e32 v8, v8, v14
	v_fmac_f32_e32 v4, 0x3dbcf732, v60
	v_mul_f32_e32 v109, 0xbf06c442, v65
	v_add_f32_e32 v9, v9, v15
	v_add_f32_e32 v8, v8, v16
	v_add_f32_e32 v4, v6, v4
	v_fma_f32 v6, v49, s17, -v109
	v_mul_f32_e32 v110, 0x3f65296c, v67
	v_add_f32_e32 v9, v9, v17
	v_add_f32_e32 v8, v8, v18
	v_add_f32_e32 v6, v1, v6
	v_fma_f32 v7, v51, s6, -v110
	;; [unrolled: 5-line block ×7, first 2 shown]
	v_mul_f32_e32 v116, 0xbf06c442, v63
	v_add_f32_e32 v9, v41, v9
	v_add_f32_e32 v8, v36, v8
	;; [unrolled: 1-line block ×3, first 2 shown]
	v_mov_b32_e32 v7, v116
	v_mul_f32_e32 v118, 0x3f65296c, v64
	v_add_f32_e32 v9, v37, v9
	v_add_f32_e32 v8, v34, v8
	v_fmac_f32_e32 v7, 0xbf59a7d5, v47
	v_mov_b32_e32 v119, v118
	v_add_f32_e32 v9, v35, v9
	v_add_f32_e32 v8, v24, v8
	v_mul_f32_e32 v34, 0xbf4c4adb, v65
	v_add_f32_e32 v7, v0, v7
	v_fmac_f32_e32 v119, 0x3ee437d1, v48
	v_add_f32_e32 v9, v25, v9
	v_fma_f32 v10, v49, s7, -v34
	v_add_f32_e32 v8, v38, v8
	v_mul_f32_e32 v35, 0x3f763a35, v67
	v_add_f32_e32 v7, v7, v119
	v_mul_f32_e32 v119, 0xbf7ee86f, v66
	v_add_f32_e32 v10, v1, v10
	v_add_f32_e32 v9, v39, v9
	v_fma_f32 v11, v51, s11, -v35
	v_add_f32_e32 v8, v26, v8
	v_mul_f32_e32 v26, 0xbeb8f4ab, v69
	v_mov_b32_e32 v120, v119
	v_add_f32_e32 v10, v10, v11
	v_add_f32_e32 v9, v27, v9
	v_fma_f32 v11, v53, s13, -v26
	v_mul_f32_e32 v27, 0xbf06c442, v71
	v_fmac_f32_e32 v120, 0x3dbcf732, v50
	v_add_f32_e32 v10, v10, v11
	v_fma_f32 v11, v55, s17, -v27
	v_mul_f32_e32 v36, 0x3f7ee86f, v74
	v_add_f32_e32 v7, v7, v120
	v_mul_f32_e32 v120, 0x3f4c4adb, v68
	v_add_f32_e32 v10, v10, v11
	v_fma_f32 v11, v57, s16, -v36
	v_mul_f32_e32 v37, 0xbf2c7751, v77
	v_mov_b32_e32 v121, v120
	v_add_f32_e32 v10, v10, v11
	v_fma_f32 v11, v59, s12, -v37
	v_mul_f32_e32 v38, 0xbe3c28d5, v81
	v_fmac_f32_e32 v121, 0xbf1a4643, v52
	v_add_f32_e32 v10, v10, v11
	v_fma_f32 v11, v61, s10, -v38
	v_mul_f32_e32 v39, 0xbf4c4adb, v63
	v_add_f32_e32 v7, v7, v121
	v_mul_f32_e32 v121, 0xbeb8f4ab, v70
	v_add_f32_e32 v10, v10, v11
	v_mov_b32_e32 v11, v39
	v_mul_f32_e32 v40, 0x3f763a35, v64
	v_mov_b32_e32 v122, v121
	v_fmac_f32_e32 v11, 0xbf1a4643, v47
	v_mov_b32_e32 v12, v40
	v_fmac_f32_e32 v122, 0x3f6eb680, v54
	v_add_f32_e32 v11, v0, v11
	v_fmac_f32_e32 v12, 0xbe8c1d8e, v48
	v_mul_f32_e32 v41, 0xbeb8f4ab, v66
	v_add_f32_e32 v7, v7, v122
	v_mul_f32_e32 v122, 0xbe3c28d5, v72
	v_add_f32_e32 v11, v11, v12
	v_mov_b32_e32 v12, v41
	v_mov_b32_e32 v123, v122
	v_fmac_f32_e32 v12, 0x3f6eb680, v50
	v_mul_f32_e32 v42, 0xbf06c442, v68
	v_fmac_f32_e32 v123, 0xbf7ba420, v56
	v_add_f32_e32 v11, v11, v12
	v_mov_b32_e32 v12, v42
	v_add_f32_e32 v7, v7, v123
	v_mul_f32_e32 v123, 0x3f2c7751, v75
	v_fmac_f32_e32 v12, 0xbf59a7d5, v52
	v_mul_f32_e32 v43, 0x3f7ee86f, v70
	v_mov_b32_e32 v124, v123
	v_add_f32_e32 v11, v11, v12
	v_mov_b32_e32 v12, v43
	v_fmac_f32_e32 v124, 0x3f3d2fb0, v58
	v_mul_f32_e32 v126, 0xbf763a35, v79
	v_fmac_f32_e32 v12, 0x3dbcf732, v54
	v_mul_f32_e32 v44, 0xbf2c7751, v72
	v_add_f32_e32 v143, v7, v124
	v_fma_f32 v7, v62, s11, -v126
	v_mul_f32_e32 v124, 0xbf763a35, v78
	v_add_f32_e32 v11, v11, v12
	v_mov_b32_e32 v12, v44
	v_add_f32_e32 v7, v6, v7
	v_mov_b32_e32 v6, v124
	v_fmac_f32_e32 v12, 0x3f3d2fb0, v56
	v_mul_f32_e32 v45, 0xbe3c28d5, v75
	v_fmac_f32_e32 v6, 0xbe8c1d8e, v60
	v_add_f32_e32 v11, v11, v12
	v_mov_b32_e32 v12, v45
	v_add_f32_e32 v6, v143, v6
	v_fmac_f32_e32 v12, 0xbf7ba420, v58
	v_mul_f32_e32 v143, 0x3f65296c, v79
	v_add_f32_e32 v12, v11, v12
	v_fma_f32 v11, v62, s6, -v143
	v_mul_f32_e32 v144, 0x3f65296c, v78
	v_add_f32_e32 v11, v10, v11
	v_mov_b32_e32 v10, v144
	v_fmac_f32_e32 v10, 0x3ee437d1, v60
	v_mul_f32_e32 v145, 0xbf763a35, v65
	v_add_f32_e32 v10, v12, v10
	v_fma_f32 v12, v49, s11, -v145
	v_mul_f32_e32 v146, 0x3f06c442, v67
	v_add_f32_e32 v12, v1, v12
	v_fma_f32 v13, v51, s17, -v146
	;; [unrolled: 3-line block ×7, first 2 shown]
	v_mul_f32_e32 v152, 0xbf763a35, v63
	v_add_f32_e32 v12, v12, v13
	v_mov_b32_e32 v13, v152
	v_mul_f32_e32 v153, 0x3f06c442, v64
	v_fmac_f32_e32 v13, 0xbe8c1d8e, v47
	v_mov_b32_e32 v14, v153
	v_add_f32_e32 v13, v0, v13
	v_fmac_f32_e32 v14, 0xbf59a7d5, v48
	v_mul_f32_e32 v154, 0x3f2c7751, v66
	v_add_f32_e32 v13, v13, v14
	v_mov_b32_e32 v14, v154
	v_fmac_f32_e32 v14, 0x3f3d2fb0, v50
	v_mul_f32_e32 v155, 0xbf65296c, v68
	v_add_f32_e32 v13, v13, v14
	v_mov_b32_e32 v14, v155
	;; [unrolled: 4-line block ×5, first 2 shown]
	v_fmac_f32_e32 v14, 0x3f6eb680, v58
	v_mul_f32_e32 v159, 0xbf4c4adb, v79
	v_add_f32_e32 v14, v13, v14
	v_fma_f32 v13, v62, s7, -v159
	v_mul_f32_e32 v160, 0xbf4c4adb, v78
	v_add_f32_e32 v13, v12, v13
	v_mov_b32_e32 v12, v160
	v_fmac_f32_e32 v12, 0xbf1a4643, v60
	v_add_f32_e32 v12, v14, v12
	v_mul_f32_e32 v14, 0x3dbcf732, v49
	v_mul_f32_e32 v16, 0x3dbcf732, v47
	v_sub_f32_e32 v14, v14, v134
	v_mul_f32_e32 v15, 0xbf7ba420, v51
	v_add_f32_e32 v16, v127, v16
	v_mul_f32_e32 v17, 0xbf7ba420, v48
	v_sub_f32_e32 v15, v15, v135
	v_add_f32_e32 v14, v1, v14
	v_add_f32_e32 v17, v128, v17
	;; [unrolled: 1-line block ×4, first 2 shown]
	v_mul_f32_e32 v15, 0xbe8c1d8e, v53
	v_add_f32_e32 v16, v16, v17
	v_mul_f32_e32 v17, 0xbe8c1d8e, v50
	v_sub_f32_e32 v15, v15, v136
	v_add_f32_e32 v17, v129, v17
	v_add_f32_e32 v14, v14, v15
	v_mul_f32_e32 v15, 0x3f6eb680, v55
	v_add_f32_e32 v16, v16, v17
	v_mul_f32_e32 v17, 0x3f6eb680, v52
	v_sub_f32_e32 v15, v15, v138
	v_add_f32_e32 v17, v130, v17
	v_add_f32_e32 v14, v14, v15
	;; [unrolled: 6-line block ×6, first 2 shown]
	v_add_f32_e32 v14, v16, v17
	v_mul_f32_e32 v16, 0x3ee437d1, v49
	v_mul_f32_e32 v18, 0x3ee437d1, v47
	v_sub_f32_e32 v16, v16, v82
	v_mul_f32_e32 v17, 0xbf1a4643, v51
	v_add_f32_e32 v18, v73, v18
	v_mul_f32_e32 v19, 0xbf1a4643, v48
	v_sub_f32_e32 v17, v17, v83
	v_add_f32_e32 v16, v1, v16
	v_add_f32_e32 v19, v76, v19
	;; [unrolled: 1-line block ×4, first 2 shown]
	v_mul_f32_e32 v17, 0xbf7ba420, v53
	v_add_f32_e32 v18, v18, v19
	v_mul_f32_e32 v19, 0xbf7ba420, v50
	v_sub_f32_e32 v17, v17, v85
	v_add_f32_e32 v19, v80, v19
	v_add_f32_e32 v16, v16, v17
	v_mul_f32_e32 v17, 0xbe8c1d8e, v55
	v_add_f32_e32 v18, v18, v19
	v_mul_f32_e32 v19, 0xbe8c1d8e, v52
	v_sub_f32_e32 v17, v17, v87
	v_add_f32_e32 v19, v84, v19
	v_add_f32_e32 v16, v16, v17
	;; [unrolled: 6-line block ×5, first 2 shown]
	v_mul_f32_e32 v17, 0xbf59a7d5, v62
	v_add_f32_e32 v18, v18, v19
	v_mul_f32_e32 v19, 0xbf59a7d5, v60
	v_sub_f32_e32 v17, v17, v125
	v_add_f32_e32 v19, v103, v19
	v_mul_f32_e32 v73, 0xbf2c7751, v65
	v_add_f32_e32 v17, v16, v17
	v_add_f32_e32 v16, v18, v19
	v_fma_f32 v18, v49, s12, -v73
	v_mul_f32_e32 v76, 0xbf7ee86f, v67
	v_add_f32_e32 v18, v1, v18
	v_fma_f32 v19, v51, s16, -v76
	v_mul_f32_e32 v80, 0xbf4c4adb, v69
	;; [unrolled: 3-line block ×7, first 2 shown]
	v_add_f32_e32 v18, v18, v19
	v_mov_b32_e32 v19, v86
	v_mul_f32_e32 v87, 0xbf7ee86f, v64
	v_fmac_f32_e32 v19, 0x3f3d2fb0, v47
	v_mov_b32_e32 v20, v87
	v_add_f32_e32 v19, v0, v19
	v_fmac_f32_e32 v20, 0x3dbcf732, v48
	v_mul_f32_e32 v88, 0xbf4c4adb, v66
	v_add_f32_e32 v19, v19, v20
	v_mov_b32_e32 v20, v88
	v_fmac_f32_e32 v20, 0xbf1a4643, v50
	v_mul_f32_e32 v89, 0xbe3c28d5, v68
	v_fmac_f32_e32 v34, 0xbf1a4643, v49
	v_add_f32_e32 v19, v19, v20
	v_mov_b32_e32 v20, v89
	v_add_f32_e32 v34, v1, v34
	v_fmac_f32_e32 v35, 0xbe8c1d8e, v51
	v_fmac_f32_e32 v20, 0xbf7ba420, v52
	v_mul_f32_e32 v90, 0x3f06c442, v70
	v_add_f32_e32 v34, v34, v35
	v_fmac_f32_e32 v26, 0x3f6eb680, v53
	v_add_f32_e32 v19, v19, v20
	v_mov_b32_e32 v20, v90
	v_add_f32_e32 v26, v34, v26
	v_fmac_f32_e32 v27, 0xbf59a7d5, v55
	v_fmac_f32_e32 v20, 0xbf59a7d5, v54
	v_mul_f32_e32 v91, 0x3f763a35, v72
	v_add_f32_e32 v26, v26, v27
	;; [unrolled: 8-line block ×4, first 2 shown]
	v_fma_f32 v26, v47, s7, -v39
	v_add_f32_e32 v20, v19, v20
	v_fma_f32 v19, v62, s13, -v117
	v_mul_f32_e32 v125, 0x3eb8f4ab, v78
	v_add_f32_e32 v26, v0, v26
	v_fma_f32 v34, v48, s11, -v40
	v_add_f32_e32 v19, v18, v19
	v_mov_b32_e32 v18, v125
	v_add_f32_e32 v26, v26, v34
	v_fma_f32 v34, v50, s13, -v41
	v_fmac_f32_e32 v18, 0x3f6eb680, v60
	v_mul_f32_e32 v65, 0xbeb8f4ab, v65
	v_add_f32_e32 v26, v26, v34
	v_fma_f32 v34, v52, s17, -v42
	v_add_f32_e32 v18, v20, v18
	v_fma_f32 v20, v49, s13, -v65
	v_mul_f32_e32 v67, 0xbf2c7751, v67
	v_add_f32_e32 v26, v26, v34
	v_fma_f32 v34, v54, s16, -v43
	v_add_f32_e32 v20, v1, v20
	v_fma_f32 v21, v51, s12, -v67
	;; [unrolled: 5-line block ×4, first 2 shown]
	v_mul_f32_e32 v74, 0xbf763a35, v74
	v_add_f32_e32 v26, v26, v34
	v_fma_f32 v34, v60, s6, -v144
	v_fmac_f32_e32 v145, 0xbe8c1d8e, v49
	v_add_f32_e32 v20, v20, v21
	v_fma_f32 v21, v57, s11, -v74
	v_mul_f32_e32 v77, 0xbf4c4adb, v77
	v_add_f32_e32 v26, v26, v34
	v_add_f32_e32 v34, v1, v145
	v_fmac_f32_e32 v146, 0xbf59a7d5, v51
	v_add_f32_e32 v20, v20, v21
	v_fma_f32 v21, v59, s7, -v77
	v_mul_f32_e32 v81, 0xbf06c442, v81
	v_add_f32_e32 v34, v34, v146
	v_fmac_f32_e32 v147, 0x3f3d2fb0, v53
	v_add_f32_e32 v20, v20, v21
	v_fma_f32 v21, v61, s17, -v81
	v_mul_f32_e32 v63, 0xbeb8f4ab, v63
	v_add_f32_e32 v34, v34, v147
	v_fmac_f32_e32 v148, 0x3ee437d1, v55
	v_add_f32_e32 v20, v20, v21
	v_mov_b32_e32 v21, v63
	v_mul_f32_e32 v64, 0xbf2c7751, v64
	v_add_f32_e32 v34, v34, v148
	v_fmac_f32_e32 v149, 0xbf7ba420, v57
	v_fmac_f32_e32 v21, 0x3f6eb680, v47
	v_mov_b32_e32 v22, v64
	v_add_f32_e32 v34, v34, v149
	v_fmac_f32_e32 v150, 0x3dbcf732, v59
	v_add_f32_e32 v21, v0, v21
	v_fmac_f32_e32 v22, 0x3f3d2fb0, v48
	v_mul_f32_e32 v66, 0xbf65296c, v66
	v_add_f32_e32 v34, v34, v150
	v_fmac_f32_e32 v151, 0x3f6eb680, v61
	v_add_f32_e32 v21, v21, v22
	v_mov_b32_e32 v22, v66
	v_add_f32_e32 v34, v34, v151
	v_fmac_f32_e32 v159, 0xbf1a4643, v62
	v_fmac_f32_e32 v22, 0x3ee437d1, v50
	v_mul_f32_e32 v68, 0xbf7ee86f, v68
	v_add_f32_e32 v35, v34, v159
	v_fma_f32 v34, v47, s11, -v152
	v_add_f32_e32 v21, v21, v22
	v_mov_b32_e32 v22, v68
	v_add_f32_e32 v34, v0, v34
	v_fma_f32 v36, v48, s17, -v153
	v_fmac_f32_e32 v22, 0x3dbcf732, v52
	v_mul_f32_e32 v70, 0xbf763a35, v70
	v_add_f32_e32 v34, v34, v36
	v_fma_f32 v36, v50, s12, -v154
	v_add_f32_e32 v21, v21, v22
	v_mov_b32_e32 v22, v70
	v_add_f32_e32 v34, v34, v36
	v_fma_f32 v36, v52, s6, -v155
	;; [unrolled: 8-line block ×4, first 2 shown]
	v_fmac_f32_e32 v73, 0x3f3d2fb0, v49
	v_fmac_f32_e32 v22, 0xbf59a7d5, v58
	v_mul_f32_e32 v79, 0xbe3c28d5, v79
	v_add_f32_e32 v34, v34, v36
	v_add_f32_e32 v36, v1, v73
	v_fmac_f32_e32 v76, 0x3dbcf732, v51
	v_add_f32_e32 v22, v21, v22
	v_fma_f32 v21, v62, s10, -v79
	v_mul_f32_e32 v78, 0xbe3c28d5, v78
	v_add_f32_e32 v36, v36, v76
	v_fmac_f32_e32 v80, 0xbf1a4643, v53
	v_add_f32_e32 v21, v20, v21
	v_mov_b32_e32 v20, v78
	v_add_f32_e32 v36, v36, v80
	v_fmac_f32_e32 v82, 0xbf7ba420, v55
	v_fmac_f32_e32 v20, 0xbf7ba420, v60
	;; [unrolled: 1-line block ×3, first 2 shown]
	v_add_f32_e32 v36, v36, v82
	v_fmac_f32_e32 v83, 0xbf59a7d5, v57
	v_add_f32_e32 v20, v22, v20
	v_add_f32_e32 v22, v1, v92
	v_fmac_f32_e32 v93, 0x3f6eb680, v51
	v_fma_f32 v23, v47, s10, -v99
	v_add_f32_e32 v36, v36, v83
	v_fmac_f32_e32 v84, 0xbe8c1d8e, v59
	v_add_f32_e32 v22, v22, v93
	v_fmac_f32_e32 v94, 0xbf59a7d5, v53
	v_add_f32_e32 v23, v0, v23
	v_fma_f32 v24, v48, s13, -v100
	v_add_f32_e32 v36, v36, v84
	v_fmac_f32_e32 v85, 0x3ee437d1, v61
	v_add_f32_e32 v22, v22, v94
	v_fmac_f32_e32 v95, 0x3f3d2fb0, v55
	v_add_f32_e32 v23, v23, v24
	v_fma_f32 v24, v50, s17, -v101
	v_add_f32_e32 v36, v36, v85
	v_fmac_f32_e32 v117, 0x3f6eb680, v62
	v_add_f32_e32 v22, v22, v95
	v_fmac_f32_e32 v96, 0xbf1a4643, v57
	v_add_f32_e32 v23, v23, v24
	v_fma_f32 v24, v52, s12, -v102
	v_add_f32_e32 v37, v36, v117
	v_fma_f32 v36, v47, s12, -v86
	v_add_f32_e32 v22, v22, v96
	v_fmac_f32_e32 v97, 0x3ee437d1, v59
	v_add_f32_e32 v23, v23, v24
	v_fma_f32 v24, v54, s7, -v104
	v_add_f32_e32 v36, v0, v36
	v_fma_f32 v38, v48, s16, -v87
	v_add_f32_e32 v22, v22, v97
	v_fmac_f32_e32 v98, 0xbe8c1d8e, v61
	v_add_f32_e32 v23, v23, v24
	v_fma_f32 v24, v56, s6, -v105
	v_add_f32_e32 v36, v36, v38
	v_fma_f32 v38, v50, s7, -v88
	v_add_f32_e32 v22, v22, v98
	v_add_f32_e32 v23, v23, v24
	v_fma_f32 v24, v58, s11, -v106
	v_fmac_f32_e32 v107, 0x3dbcf732, v62
	v_add_f32_e32 v36, v36, v38
	v_fma_f32 v38, v52, s10, -v89
	v_add_f32_e32 v24, v23, v24
	v_add_f32_e32 v23, v22, v107
	v_fma_f32 v22, v60, s16, -v108
	v_fmac_f32_e32 v109, 0xbf59a7d5, v49
	v_add_f32_e32 v36, v36, v38
	v_fma_f32 v38, v54, s17, -v90
	v_add_f32_e32 v22, v24, v22
	v_add_f32_e32 v24, v1, v109
	v_fmac_f32_e32 v110, 0x3ee437d1, v51
	v_add_f32_e32 v36, v36, v38
	v_fma_f32 v38, v56, s11, -v91
	v_add_f32_e32 v24, v24, v110
	v_fmac_f32_e32 v111, 0x3dbcf732, v53
	v_add_f32_e32 v36, v36, v38
	v_fma_f32 v38, v58, s6, -v103
	;; [unrolled: 4-line block ×3, first 2 shown]
	v_add_f32_e32 v24, v24, v112
	v_fmac_f32_e32 v113, 0x3f6eb680, v57
	v_fma_f32 v25, v47, s17, -v116
	v_add_f32_e32 v36, v36, v38
	v_fma_f32 v38, v47, s13, -v63
	v_add_f32_e32 v24, v24, v113
	v_fmac_f32_e32 v114, 0xbf7ba420, v59
	v_add_f32_e32 v25, v0, v25
	v_fmac_f32_e32 v65, 0x3f6eb680, v49
	v_add_f32_e32 v0, v0, v38
	v_fma_f32 v38, v48, s12, -v64
	v_add_f32_e32 v24, v24, v114
	v_fmac_f32_e32 v115, 0x3f3d2fb0, v61
	v_fma_f32 v92, v48, s6, -v118
	v_add_f32_e32 v1, v1, v65
	v_fmac_f32_e32 v67, 0x3f3d2fb0, v51
	v_add_f32_e32 v0, v0, v38
	v_fma_f32 v38, v50, s6, -v66
	v_add_f32_e32 v24, v24, v115
	v_add_f32_e32 v25, v25, v92
	v_fma_f32 v92, v50, s16, -v119
	v_fmac_f32_e32 v126, 0xbe8c1d8e, v62
	v_add_f32_e32 v1, v1, v67
	v_fmac_f32_e32 v69, 0x3ee437d1, v53
	v_add_f32_e32 v0, v0, v38
	v_fma_f32 v38, v52, s16, -v68
	v_add_f32_e32 v92, v25, v92
	v_add_f32_e32 v25, v24, v126
	v_fma_f32 v24, v52, s7, -v120
	v_add_f32_e32 v1, v1, v69
	v_fmac_f32_e32 v71, 0x3dbcf732, v55
	v_add_f32_e32 v0, v0, v38
	v_fma_f32 v38, v54, s11, -v70
	v_add_f32_e32 v24, v92, v24
	v_fma_f32 v92, v54, s13, -v121
	v_add_f32_e32 v1, v1, v71
	v_fmac_f32_e32 v74, 0xbe8c1d8e, v57
	v_add_f32_e32 v0, v0, v38
	v_fma_f32 v38, v56, s7, -v72
	;; [unrolled: 6-line block ×4, first 2 shown]
	s_movk_i32 s0, 0x88
	v_add_f32_e32 v24, v24, v92
	v_fma_f32 v92, v60, s11, -v124
	v_add_f32_e32 v1, v1, v81
	v_fmac_f32_e32 v79, 0xbf7ba420, v62
	v_add_f32_e32 v0, v0, v38
	v_mad_u32_u24 v38, v46, s0, 0
	v_add_f32_e32 v24, v24, v92
	v_add_f32_e32 v1, v1, v79
	ds_write2_b64 v38, v[8:9], v[20:21] offset1:1
	ds_write2_b64 v38, v[18:19], v[16:17] offset0:2 offset1:3
	ds_write2_b64 v38, v[14:15], v[12:13] offset0:4 offset1:5
	;; [unrolled: 1-line block ×7, first 2 shown]
	ds_write_b64 v38, v[0:1] offset:128
.LBB0_13:
	s_or_b64 exec, exec, s[2:3]
	s_movk_i32 s0, 0xf1
	v_mul_lo_u16_sdwa v0, v46, s0 dst_sel:DWORD dst_unused:UNUSED_PAD src0_sel:BYTE_0 src1_sel:DWORD
	v_lshrrev_b16_e32 v4, 12, v0
	v_mul_lo_u16_e32 v0, 17, v4
	v_sub_u16_e32 v5, v46, v0
	v_mov_b32_e32 v0, 12
	v_mul_u32_u24_sdwa v0, v5, v0 dst_sel:DWORD dst_unused:UNUSED_PAD src0_sel:BYTE_0 src1_sel:DWORD
	v_lshlrev_b32_e32 v0, 3, v0
	s_load_dwordx2 s[2:3], s[4:5], 0x0
	s_waitcnt lgkmcnt(0)
	; wave barrier
	s_waitcnt lgkmcnt(0)
	global_load_dwordx4 v[6:9], v0, s[8:9]
	global_load_dwordx4 v[10:13], v0, s[8:9] offset:16
	global_load_dwordx4 v[14:17], v0, s[8:9] offset:32
	;; [unrolled: 1-line block ×5, first 2 shown]
	v_lshl_add_u32 v34, v46, 3, 0
	ds_read2_b64 v[47:50], v34 offset1:51
	ds_read2_b64 v[51:54], v34 offset0:102 offset1:153
	ds_read2_b64 v[55:58], v34 offset0:204 offset1:255
	v_add_u32_e32 v20, 0x800, v34
	v_add_u32_e32 v0, 0xc00, v34
	ds_read_b64 v[18:19], v34 offset:4896
	ds_read2_b64 v[59:62], v20 offset0:50 offset1:101
	ds_read2_b64 v[63:66], v20 offset0:152 offset1:203
	;; [unrolled: 1-line block ×3, first 2 shown]
	s_mov_b32 s4, 0x3f62ad3f
	s_mov_b32 s1, 0x3f116cb1
	;; [unrolled: 1-line block ×6, first 2 shown]
	v_mul_u32_u24_e32 v4, 0x6e8, v4
	s_waitcnt lgkmcnt(0)
	; wave barrier
	s_waitcnt vmcnt(5) lgkmcnt(0)
	v_mul_f32_e32 v1, v7, v50
	v_mul_f32_e32 v7, v7, v49
	;; [unrolled: 1-line block ×4, first 2 shown]
	v_fmac_f32_e32 v1, v6, v49
	v_fma_f32 v49, v6, v50, -v7
	s_waitcnt vmcnt(4)
	v_mul_f32_e32 v26, v11, v54
	v_mul_f32_e32 v11, v11, v53
	v_fmac_f32_e32 v25, v8, v51
	v_fma_f32 v8, v8, v52, -v9
	v_add_f32_e32 v7, v49, v48
	v_mul_f32_e32 v27, v13, v56
	v_mul_f32_e32 v13, v13, v55
	v_fma_f32 v9, v10, v54, -v11
	v_add_f32_e32 v7, v7, v8
	s_waitcnt vmcnt(3)
	v_mul_f32_e32 v43, v58, v15
	v_mul_f32_e32 v15, v57, v15
	v_fmac_f32_e32 v26, v10, v53
	v_fma_f32 v10, v12, v56, -v13
	v_add_f32_e32 v7, v7, v9
	v_mul_f32_e32 v0, v60, v17
	v_mul_f32_e32 v17, v59, v17
	v_fma_f32 v11, v58, v14, -v15
	v_add_f32_e32 v7, v7, v10
	;; [unrolled: 10-line block ×4, first 2 shown]
	s_waitcnt vmcnt(0)
	v_mul_f32_e32 v73, v70, v40
	v_mul_f32_e32 v40, v69, v40
	;; [unrolled: 1-line block ×4, first 2 shown]
	v_fmac_f32_e32 v0, v59, v16
	v_fma_f32 v16, v68, v37, -v38
	v_add_f32_e32 v7, v7, v15
	v_fma_f32 v17, v70, v39, -v40
	v_fmac_f32_e32 v74, v18, v41
	v_fma_f32 v18, v19, v41, -v42
	v_add_f32_e32 v7, v7, v16
	v_fmac_f32_e32 v44, v61, v21
	v_add_f32_e32 v21, v49, v18
	v_add_f32_e32 v7, v7, v17
	;; [unrolled: 1-line block ×5, first 2 shown]
	v_sub_f32_e32 v1, v1, v74
	v_sub_f32_e32 v18, v49, v18
	v_mul_f32_e32 v24, 0x3f62ad3f, v21
	v_mul_f32_e32 v38, 0x3f116cb1, v21
	;; [unrolled: 1-line block ×6, first 2 shown]
	v_fmac_f32_e32 v71, v65, v35
	v_fmac_f32_e32 v73, v69, v39
	v_mul_f32_e32 v22, 0xbeedf032, v18
	v_mov_b32_e32 v35, v24
	v_mul_f32_e32 v36, 0xbf52af12, v18
	v_mov_b32_e32 v39, v38
	;; [unrolled: 2-line block ×6, first 2 shown]
	v_fmac_f32_e32 v21, 0xbe750f2a, v1
	v_fmac_f32_e32 v45, v63, v23
	;; [unrolled: 1-line block ×3, first 2 shown]
	v_mov_b32_e32 v23, v22
	v_fmac_f32_e32 v35, 0x3eedf032, v1
	v_fmac_f32_e32 v24, 0xbeedf032, v1
	v_mov_b32_e32 v37, v36
	v_fmac_f32_e32 v39, 0x3f52af12, v1
	v_fmac_f32_e32 v38, 0xbf52af12, v1
	;; [unrolled: 3-line block ×5, first 2 shown]
	v_mov_b32_e32 v58, v18
	v_fmac_f32_e32 v59, 0x3e750f2a, v1
	v_add_f32_e32 v1, v21, v48
	v_add_f32_e32 v21, v8, v17
	v_sub_f32_e32 v8, v8, v17
	v_fmac_f32_e32 v23, 0x3f62ad3f, v19
	v_fma_f32 v22, v19, s4, -v22
	v_fmac_f32_e32 v37, 0x3f116cb1, v19
	v_fma_f32 v36, v19, s1, -v36
	;; [unrolled: 2-line block ×6, first 2 shown]
	v_mul_f32_e32 v17, 0xbf52af12, v8
	v_add_f32_e32 v23, v23, v47
	v_add_f32_e32 v22, v22, v47
	;; [unrolled: 1-line block ×13, first 2 shown]
	v_mov_b32_e32 v47, v17
	v_fmac_f32_e32 v47, 0x3f116cb1, v19
	v_add_f32_e32 v6, v6, v25
	v_sub_f32_e32 v25, v25, v73
	v_add_f32_e32 v23, v47, v23
	v_mul_f32_e32 v47, 0x3f116cb1, v21
	v_add_f32_e32 v35, v35, v48
	v_add_f32_e32 v24, v24, v48
	;; [unrolled: 1-line block ×11, first 2 shown]
	v_mov_b32_e32 v48, v47
	v_fma_f32 v17, v19, s1, -v17
	v_fmac_f32_e32 v47, 0xbf52af12, v25
	v_add_f32_e32 v17, v17, v22
	v_add_f32_e32 v22, v47, v24
	v_mul_f32_e32 v24, 0xbf6f5d39, v8
	v_mov_b32_e32 v47, v24
	v_fmac_f32_e32 v47, 0xbeb58ec6, v19
	v_fmac_f32_e32 v48, 0x3f52af12, v25
	v_add_f32_e32 v37, v47, v37
	v_mul_f32_e32 v47, 0xbeb58ec6, v21
	v_add_f32_e32 v35, v48, v35
	v_mov_b32_e32 v48, v47
	v_fma_f32 v24, v19, s5, -v24
	v_fmac_f32_e32 v47, 0xbf6f5d39, v25
	v_add_f32_e32 v24, v24, v36
	v_add_f32_e32 v36, v47, v38
	v_mul_f32_e32 v38, 0xbe750f2a, v8
	v_mov_b32_e32 v47, v38
	v_fmac_f32_e32 v47, 0xbf788fa5, v19
	v_fmac_f32_e32 v48, 0x3f6f5d39, v25
	v_add_f32_e32 v41, v47, v41
	v_mul_f32_e32 v47, 0xbf788fa5, v21
	v_add_f32_e32 v39, v48, v39
	v_mov_b32_e32 v48, v47
	v_fma_f32 v38, v19, s7, -v38
	v_fmac_f32_e32 v47, 0xbe750f2a, v25
	v_add_f32_e32 v38, v38, v40
	v_add_f32_e32 v40, v47, v42
	v_mul_f32_e32 v42, 0x3f29c268, v8
	v_fmac_f32_e32 v48, 0x3e750f2a, v25
	v_mov_b32_e32 v47, v42
	v_add_f32_e32 v48, v48, v49
	v_fmac_f32_e32 v47, 0xbf3f9e67, v19
	v_mul_f32_e32 v49, 0xbf3f9e67, v21
	v_fma_f32 v42, v19, s6, -v42
	v_add_f32_e32 v47, v47, v51
	v_mov_b32_e32 v51, v49
	v_add_f32_e32 v42, v42, v50
	v_fmac_f32_e32 v49, 0x3f29c268, v25
	v_mul_f32_e32 v50, 0x3f7e222b, v8
	v_fmac_f32_e32 v51, 0xbf29c268, v25
	v_add_f32_e32 v49, v49, v52
	v_mov_b32_e32 v52, v50
	v_fma_f32 v50, v19, s0, -v50
	v_mul_f32_e32 v8, 0x3eedf032, v8
	v_add_f32_e32 v51, v51, v53
	v_fmac_f32_e32 v52, 0x3df6dbef, v19
	v_mul_f32_e32 v53, 0x3df6dbef, v21
	v_add_f32_e32 v50, v50, v54
	v_mov_b32_e32 v54, v8
	v_add_f32_e32 v52, v52, v55
	v_mov_b32_e32 v55, v53
	v_fmac_f32_e32 v53, 0x3f7e222b, v25
	v_fmac_f32_e32 v54, 0x3f62ad3f, v19
	v_mul_f32_e32 v21, 0x3f62ad3f, v21
	v_fma_f32 v8, v19, s4, -v8
	v_add_f32_e32 v19, v9, v16
	v_sub_f32_e32 v9, v9, v16
	v_add_f32_e32 v53, v53, v56
	v_mov_b32_e32 v56, v21
	v_mul_f32_e32 v16, 0xbf7e222b, v9
	v_fmac_f32_e32 v55, 0xbf7e222b, v25
	v_fmac_f32_e32 v56, 0xbeedf032, v25
	v_add_f32_e32 v8, v8, v18
	v_fmac_f32_e32 v21, 0x3eedf032, v25
	v_add_f32_e32 v18, v26, v72
	v_mov_b32_e32 v25, v16
	v_fmac_f32_e32 v25, 0x3df6dbef, v18
	v_add_f32_e32 v1, v21, v1
	v_sub_f32_e32 v21, v26, v72
	v_add_f32_e32 v23, v25, v23
	v_mul_f32_e32 v25, 0x3df6dbef, v19
	v_add_f32_e32 v6, v6, v26
	v_mov_b32_e32 v26, v25
	v_fma_f32 v16, v18, s0, -v16
	v_fmac_f32_e32 v25, 0xbf7e222b, v21
	v_add_f32_e32 v16, v16, v17
	v_add_f32_e32 v17, v25, v22
	v_mul_f32_e32 v22, 0xbe750f2a, v9
	v_fmac_f32_e32 v26, 0x3f7e222b, v21
	v_mov_b32_e32 v25, v22
	v_add_f32_e32 v26, v26, v35
	v_fmac_f32_e32 v25, 0xbf788fa5, v18
	v_mul_f32_e32 v35, 0xbf788fa5, v19
	v_add_f32_e32 v25, v25, v37
	v_mov_b32_e32 v37, v35
	v_fma_f32 v22, v18, s7, -v22
	v_fmac_f32_e32 v35, 0xbe750f2a, v21
	v_add_f32_e32 v22, v22, v24
	v_add_f32_e32 v24, v35, v36
	v_mul_f32_e32 v35, 0x3f6f5d39, v9
	v_fmac_f32_e32 v37, 0x3e750f2a, v21
	v_mov_b32_e32 v36, v35
	v_add_f32_e32 v37, v37, v39
	v_fmac_f32_e32 v36, 0xbeb58ec6, v18
	v_mul_f32_e32 v39, 0xbeb58ec6, v19
	v_add_f32_e32 v36, v36, v41
	v_mov_b32_e32 v41, v39
	v_fma_f32 v35, v18, s5, -v35
	v_fmac_f32_e32 v39, 0x3f6f5d39, v21
	v_add_f32_e32 v35, v35, v38
	v_add_f32_e32 v38, v39, v40
	v_mul_f32_e32 v39, 0x3eedf032, v9
	v_mov_b32_e32 v40, v39
	v_fmac_f32_e32 v40, 0x3f62ad3f, v18
	v_fmac_f32_e32 v41, 0xbf6f5d39, v21
	v_add_f32_e32 v40, v40, v47
	v_mul_f32_e32 v47, 0x3f62ad3f, v19
	v_add_f32_e32 v41, v41, v48
	v_mov_b32_e32 v48, v47
	v_fma_f32 v39, v18, s4, -v39
	v_fmac_f32_e32 v47, 0x3eedf032, v21
	v_add_f32_e32 v39, v39, v42
	v_add_f32_e32 v42, v47, v49
	v_mul_f32_e32 v47, 0xbf52af12, v9
	v_fmac_f32_e32 v48, 0xbeedf032, v21
	v_mov_b32_e32 v49, v47
	v_add_f32_e32 v48, v48, v51
	v_fmac_f32_e32 v49, 0x3f116cb1, v18
	v_mul_f32_e32 v51, 0x3f116cb1, v19
	v_add_f32_e32 v49, v49, v52
	v_mov_b32_e32 v52, v51
	v_fma_f32 v47, v18, s1, -v47
	v_fmac_f32_e32 v51, 0xbf52af12, v21
	v_mul_f32_e32 v9, 0xbf29c268, v9
	v_add_f32_e32 v47, v47, v50
	v_add_f32_e32 v50, v51, v53
	v_mov_b32_e32 v51, v9
	v_fmac_f32_e32 v51, 0xbf3f9e67, v18
	v_mul_f32_e32 v19, 0xbf3f9e67, v19
	v_fma_f32 v9, v18, s6, -v9
	v_add_f32_e32 v18, v10, v15
	v_sub_f32_e32 v10, v10, v15
	v_mov_b32_e32 v53, v19
	v_mul_f32_e32 v15, 0xbf6f5d39, v10
	v_fmac_f32_e32 v52, 0x3f52af12, v21
	v_fmac_f32_e32 v53, 0x3f29c268, v21
	v_add_f32_e32 v8, v9, v8
	v_fmac_f32_e32 v19, 0xbf29c268, v21
	v_add_f32_e32 v9, v27, v71
	v_mov_b32_e32 v21, v15
	v_fmac_f32_e32 v21, 0xbeb58ec6, v9
	v_add_f32_e32 v1, v19, v1
	v_sub_f32_e32 v19, v27, v71
	v_add_f32_e32 v21, v21, v23
	v_mul_f32_e32 v23, 0xbeb58ec6, v18
	v_add_f32_e32 v6, v6, v27
	v_mov_b32_e32 v27, v23
	v_fma_f32 v15, v9, s5, -v15
	v_fmac_f32_e32 v23, 0xbf6f5d39, v19
	v_add_f32_e32 v15, v15, v16
	v_add_f32_e32 v16, v23, v17
	v_mul_f32_e32 v17, 0x3f29c268, v10
	v_mov_b32_e32 v23, v17
	v_fmac_f32_e32 v23, 0xbf3f9e67, v9
	v_fmac_f32_e32 v27, 0x3f6f5d39, v19
	v_add_f32_e32 v23, v23, v25
	v_mul_f32_e32 v25, 0xbf3f9e67, v18
	v_add_f32_e32 v26, v27, v26
	v_mov_b32_e32 v27, v25
	v_fma_f32 v17, v9, s6, -v17
	v_fmac_f32_e32 v25, 0x3f29c268, v19
	v_add_f32_e32 v17, v17, v22
	v_add_f32_e32 v22, v25, v24
	v_mul_f32_e32 v24, 0x3eedf032, v10
	v_mov_b32_e32 v25, v24
	v_fmac_f32_e32 v25, 0x3f62ad3f, v9
	v_fmac_f32_e32 v27, 0xbf29c268, v19
	;; [unrolled: 12-line block ×3, first 2 shown]
	v_add_f32_e32 v38, v38, v40
	v_mul_f32_e32 v40, 0x3df6dbef, v18
	v_add_f32_e32 v37, v37, v41
	v_mov_b32_e32 v41, v40
	v_fma_f32 v36, v9, s0, -v36
	v_fmac_f32_e32 v40, 0xbf7e222b, v19
	v_add_f32_e32 v36, v36, v39
	v_add_f32_e32 v39, v40, v42
	v_mul_f32_e32 v40, 0x3e750f2a, v10
	v_fmac_f32_e32 v41, 0x3f7e222b, v19
	v_mov_b32_e32 v42, v40
	v_add_f32_e32 v41, v41, v48
	v_fmac_f32_e32 v42, 0xbf788fa5, v9
	v_mul_f32_e32 v48, 0xbf788fa5, v18
	v_add_f32_e32 v42, v42, v49
	v_mov_b32_e32 v49, v48
	v_fma_f32 v40, v9, s7, -v40
	v_fmac_f32_e32 v48, 0x3e750f2a, v19
	v_mul_f32_e32 v10, 0x3f52af12, v10
	v_add_f32_e32 v40, v40, v47
	v_add_f32_e32 v47, v48, v50
	v_mov_b32_e32 v48, v10
	v_fmac_f32_e32 v48, 0x3f116cb1, v9
	v_mul_f32_e32 v18, 0x3f116cb1, v18
	v_fma_f32 v9, v9, s1, -v10
	v_add_f32_e32 v10, v11, v14
	v_sub_f32_e32 v11, v11, v14
	v_mov_b32_e32 v50, v18
	v_mul_f32_e32 v14, 0xbf29c268, v11
	v_fmac_f32_e32 v49, 0xbe750f2a, v19
	v_fmac_f32_e32 v50, 0xbf52af12, v19
	v_add_f32_e32 v8, v9, v8
	v_fmac_f32_e32 v18, 0x3f52af12, v19
	v_add_f32_e32 v9, v43, v45
	v_mov_b32_e32 v19, v14
	v_fmac_f32_e32 v19, 0xbf3f9e67, v9
	v_add_f32_e32 v1, v18, v1
	v_sub_f32_e32 v18, v43, v45
	v_add_f32_e32 v19, v19, v21
	v_mul_f32_e32 v21, 0xbf3f9e67, v10
	v_add_f32_e32 v6, v6, v43
	v_mov_b32_e32 v43, v21
	v_fma_f32 v14, v9, s6, -v14
	v_fmac_f32_e32 v21, 0xbf29c268, v18
	v_add_f32_e32 v14, v14, v15
	v_add_f32_e32 v15, v21, v16
	v_mul_f32_e32 v16, 0x3f7e222b, v11
	v_mov_b32_e32 v21, v16
	v_fmac_f32_e32 v21, 0x3df6dbef, v9
	v_fmac_f32_e32 v43, 0x3f29c268, v18
	v_add_f32_e32 v21, v21, v23
	v_mul_f32_e32 v23, 0x3df6dbef, v10
	v_add_f32_e32 v26, v43, v26
	v_mov_b32_e32 v43, v23
	v_fma_f32 v16, v9, s0, -v16
	v_fmac_f32_e32 v23, 0x3f7e222b, v18
	v_add_f32_e32 v16, v16, v17
	v_add_f32_e32 v17, v23, v22
	v_mul_f32_e32 v22, 0xbf52af12, v11
	v_mov_b32_e32 v23, v22
	v_fmac_f32_e32 v23, 0x3f116cb1, v9
	v_fmac_f32_e32 v43, 0xbf7e222b, v18
	;; [unrolled: 12-line block ×3, first 2 shown]
	v_add_f32_e32 v35, v35, v38
	v_mul_f32_e32 v38, 0xbf788fa5, v10
	v_add_f32_e32 v37, v43, v37
	v_mov_b32_e32 v43, v38
	v_fma_f32 v25, v9, s7, -v25
	v_fmac_f32_e32 v38, 0x3e750f2a, v18
	v_add_f32_e32 v25, v25, v36
	v_add_f32_e32 v36, v38, v39
	v_mul_f32_e32 v38, 0x3eedf032, v11
	v_mov_b32_e32 v39, v38
	v_add_f32_e32 v6, v6, v0
	v_fmac_f32_e32 v39, 0x3f62ad3f, v9
	v_add_f32_e32 v6, v6, v44
	v_add_f32_e32 v55, v55, v57
	;; [unrolled: 1-line block ×4, first 2 shown]
	v_fmac_f32_e32 v43, 0xbe750f2a, v18
	v_add_f32_e32 v39, v39, v42
	v_mul_f32_e32 v42, 0x3f62ad3f, v10
	v_mul_f32_e32 v10, 0xbeb58ec6, v10
	v_add_f32_e32 v6, v6, v45
	v_add_f32_e32 v52, v52, v55
	;; [unrolled: 1-line block ×5, first 2 shown]
	v_mov_b32_e32 v43, v42
	v_fma_f32 v38, v9, s4, -v38
	v_fmac_f32_e32 v42, 0x3eedf032, v18
	v_mul_f32_e32 v11, 0xbf6f5d39, v11
	v_mov_b32_e32 v45, v10
	v_add_f32_e32 v49, v49, v52
	v_add_f32_e32 v48, v48, v51
	;; [unrolled: 1-line block ×3, first 2 shown]
	v_fmac_f32_e32 v43, 0xbeedf032, v18
	v_add_f32_e32 v38, v38, v40
	v_add_f32_e32 v40, v42, v47
	v_mov_b32_e32 v42, v11
	v_fmac_f32_e32 v45, 0x3f6f5d39, v18
	v_sub_f32_e32 v51, v12, v13
	v_add_f32_e32 v43, v43, v49
	v_fmac_f32_e32 v42, 0xbeb58ec6, v9
	v_add_f32_e32 v45, v45, v50
	v_fmac_f32_e32 v10, 0xbf6f5d39, v18
	v_add_f32_e32 v49, v0, v44
	v_add_f32_e32 v50, v12, v13
	v_sub_f32_e32 v44, v0, v44
	v_mul_f32_e32 v0, 0xbe750f2a, v51
	v_mul_f32_e32 v12, 0x3eedf032, v51
	v_add_f32_e32 v42, v42, v48
	v_add_f32_e32 v48, v10, v1
	v_mov_b32_e32 v1, v0
	v_mov_b32_e32 v10, v12
	v_fma_f32 v9, v9, s5, -v11
	v_fmac_f32_e32 v1, 0xbf788fa5, v49
	v_fmac_f32_e32 v10, 0x3f62ad3f, v49
	v_mul_f32_e32 v13, 0x3f62ad3f, v50
	v_fma_f32 v12, v49, s4, -v12
	v_add_f32_e32 v47, v9, v8
	v_add_f32_e32 v8, v1, v19
	v_mul_f32_e32 v1, 0xbf788fa5, v50
	v_fma_f32 v0, v49, s7, -v0
	v_add_f32_e32 v10, v10, v21
	v_mov_b32_e32 v11, v13
	v_add_f32_e32 v12, v12, v16
	v_fmac_f32_e32 v13, 0x3eedf032, v44
	v_mul_f32_e32 v16, 0xbf29c268, v51
	v_mul_f32_e32 v21, 0x3f52af12, v51
	v_mov_b32_e32 v9, v1
	v_add_f32_e32 v0, v0, v14
	v_fmac_f32_e32 v1, 0xbe750f2a, v44
	v_fmac_f32_e32 v11, 0xbeedf032, v44
	v_add_f32_e32 v13, v13, v17
	v_mov_b32_e32 v14, v16
	v_mul_f32_e32 v17, 0xbf3f9e67, v50
	v_mov_b32_e32 v18, v21
	v_fma_f32 v21, v49, s1, -v21
	v_add_f32_e32 v1, v1, v15
	v_add_f32_e32 v11, v11, v27
	v_fmac_f32_e32 v14, 0xbf3f9e67, v49
	v_mov_b32_e32 v15, v17
	v_fma_f32 v16, v49, s6, -v16
	v_fmac_f32_e32 v18, 0x3f116cb1, v49
	v_add_f32_e32 v21, v21, v25
	v_mul_f32_e32 v25, 0xbf6f5d39, v51
	v_mul_f32_e32 v27, 0x3f7e222b, v51
	v_add_f32_e32 v6, v6, v71
	v_fmac_f32_e32 v9, 0x3e750f2a, v44
	v_add_f32_e32 v14, v14, v23
	v_fmac_f32_e32 v15, 0x3f29c268, v44
	v_add_f32_e32 v16, v16, v22
	v_add_f32_e32 v18, v18, v35
	v_mul_f32_e32 v22, 0x3f116cb1, v50
	v_mov_b32_e32 v23, v25
	v_fma_f32 v25, v49, s5, -v25
	v_mov_b32_e32 v35, v27
	v_fma_f32 v27, v49, s0, -v27
	v_add_f32_e32 v6, v6, v72
	v_add_f32_e32 v9, v9, v26
	;; [unrolled: 1-line block ×3, first 2 shown]
	v_fmac_f32_e32 v17, 0xbf29c268, v44
	v_mov_b32_e32 v19, v22
	v_fmac_f32_e32 v22, 0x3f52af12, v44
	v_mul_f32_e32 v26, 0xbeb58ec6, v50
	v_add_f32_e32 v25, v25, v38
	v_mul_f32_e32 v38, 0x3df6dbef, v50
	v_add_f32_e32 v37, v27, v47
	v_mov_b32_e32 v27, 3
	v_add_f32_e32 v6, v6, v73
	v_add_f32_e32 v17, v17, v24
	;; [unrolled: 1-line block ×3, first 2 shown]
	v_mov_b32_e32 v24, v26
	v_mov_b32_e32 v36, v38
	v_lshlrev_b32_sdwa v5, v27, v5 dst_sel:DWORD dst_unused:UNUSED_PAD src0_sel:DWORD src1_sel:BYTE_0
	v_add_f32_e32 v6, v6, v74
	v_fmac_f32_e32 v19, 0xbf52af12, v44
	v_fmac_f32_e32 v23, 0xbeb58ec6, v49
	;; [unrolled: 1-line block ×7, first 2 shown]
	v_add3_u32 v4, 0, v4, v5
	v_add_f32_e32 v19, v19, v41
	v_add_f32_e32 v23, v23, v39
	;; [unrolled: 1-line block ×7, first 2 shown]
	ds_write2_b64 v4, v[6:7], v[8:9] offset1:17
	ds_write2_b64 v4, v[10:11], v[14:15] offset0:34 offset1:51
	ds_write2_b64 v4, v[18:19], v[23:24] offset0:68 offset1:85
	;; [unrolled: 1-line block ×5, first 2 shown]
	ds_write_b64 v4, v[0:1] offset:1632
	v_add_u32_e32 v8, 0x400, v34
	s_waitcnt lgkmcnt(0)
	; wave barrier
	s_waitcnt lgkmcnt(0)
	ds_read2_b64 v[4:7], v34 offset1:51
	ds_read2_b64 v[8:11], v8 offset0:93 offset1:144
	ds_read2_b64 v[12:15], v20 offset0:186 offset1:237
	;; [unrolled: 1-line block ×4, first 2 shown]
	v_add_u32_e32 v24, 0x1000, v34
	ds_read2_b64 v[24:27], v24 offset0:32 offset1:83
	v_cmp_gt_u32_e64 s[0:1], 17, v46
	s_and_saveexec_b64 s[4:5], s[0:1]
	s_cbranch_execz .LBB0_15
; %bb.14:
	v_add_u32_e32 v0, 0x600, v34
	ds_read2_b64 v[0:3], v0 offset0:12 offset1:233
	ds_read_b64 v[32:33], v34 offset:5168
.LBB0_15:
	s_or_b64 exec, exec, s[4:5]
	s_and_saveexec_b64 s[4:5], vcc
	s_cbranch_execz .LBB0_18
; %bb.16:
	v_add_u32_e32 v55, 0x99, v46
	v_lshlrev_b32_e32 v34, 1, v55
	v_mov_b32_e32 v35, 0
	v_lshlrev_b64 v[36:37], 3, v[34:35]
	v_add_u32_e32 v56, 0x66, v46
	v_lshlrev_b32_e32 v34, 1, v56
	v_mov_b32_e32 v51, s9
	v_add_co_u32_e32 v36, vcc, s8, v36
	v_lshlrev_b64 v[40:41], 3, v[34:35]
	v_add_u32_e32 v57, 51, v46
	v_addc_co_u32_e32 v37, vcc, v51, v37, vcc
	v_lshlrev_b32_e32 v34, 1, v57
	v_add_co_u32_e32 v40, vcc, s8, v40
	v_lshlrev_b64 v[44:45], 3, v[34:35]
	v_addc_co_u32_e32 v41, vcc, v51, v41, vcc
	global_load_dwordx4 v[36:39], v[36:37], off offset:1632
	v_add_co_u32_e32 v44, vcc, s8, v44
	global_load_dwordx4 v[40:43], v[40:41], off offset:1632
	v_addc_co_u32_e32 v45, vcc, v51, v45, vcc
	global_load_dwordx4 v[47:50], v[44:45], off offset:1632
	v_lshlrev_b32_e32 v34, 1, v46
	v_lshlrev_b64 v[44:45], 3, v[34:35]
	v_mul_lo_u32 v58, s3, v30
	v_add_co_u32_e32 v44, vcc, s8, v44
	v_addc_co_u32_e32 v45, vcc, v51, v45, vcc
	global_load_dwordx4 v[51:54], v[44:45], off offset:1632
	v_mul_lo_u32 v34, s2, v31
	v_mad_u64_u32 v[30:31], s[2:3], s2, v30, 0
	s_mov_b32 s5, 0x288b0129
	s_movk_i32 s4, 0x1ba
	v_add3_u32 v31, v31, v34, v58
	s_waitcnt vmcnt(3) lgkmcnt(1)
	v_mul_f32_e32 v34, v37, v22
	s_waitcnt lgkmcnt(0)
	v_mul_f32_e32 v44, v26, v39
	v_mul_f32_e32 v37, v37, v23
	;; [unrolled: 1-line block ×3, first 2 shown]
	v_fma_f32 v23, v36, v23, -v34
	v_fma_f32 v27, v27, v38, -v44
	v_fmac_f32_e32 v37, v36, v22
	v_fmac_f32_e32 v39, v26, v38
	s_waitcnt vmcnt(2)
	v_mul_f32_e32 v26, v43, v24
	v_mul_f32_e32 v34, v41, v21
	;; [unrolled: 1-line block ×4, first 2 shown]
	v_add_f32_e32 v38, v23, v27
	v_add_f32_e32 v43, v19, v23
	v_fma_f32 v25, v42, v25, -v26
	v_fmac_f32_e32 v34, v40, v20
	v_fmac_f32_e32 v36, v42, v24
	s_waitcnt vmcnt(1)
	v_mul_f32_e32 v24, v48, v10
	v_mul_f32_e32 v26, v50, v14
	v_sub_f32_e32 v41, v37, v39
	v_add_f32_e32 v44, v37, v39
	v_sub_f32_e32 v45, v23, v27
	v_add_f32_e32 v23, v18, v37
	v_fma_f32 v22, v40, v21, -v22
	v_fma_f32 v19, -0.5, v38, v19
	v_add_f32_e32 v21, v43, v27
	v_sub_f32_e32 v38, v34, v36
	v_add_f32_e32 v37, v34, v36
	v_add_f32_e32 v34, v16, v34
	v_fma_f32 v42, v47, v11, -v24
	v_fma_f32 v43, v49, v15, -v26
	v_add_f32_e32 v24, v34, v36
	v_add_f32_e32 v34, v42, v43
	v_fma_f32 v16, -0.5, v37, v16
	v_fma_f32 v37, -0.5, v34, v7
	v_mul_f32_e32 v34, v48, v11
	v_mul_f32_e32 v15, v50, v15
	v_add_f32_e32 v27, v22, v25
	v_fmac_f32_e32 v34, v47, v10
	v_fmac_f32_e32 v15, v49, v14
	v_add_f32_e32 v40, v17, v22
	v_fma_f32 v17, -0.5, v27, v17
	v_sub_f32_e32 v14, v34, v15
	v_mov_b32_e32 v11, v37
	v_add_f32_e32 v10, v34, v15
	v_mov_b32_e32 v27, v17
	v_fmac_f32_e32 v11, 0xbf5db3d7, v14
	v_fma_f32 v36, -0.5, v10, v6
	v_fmac_f32_e32 v37, 0x3f5db3d7, v14
	v_add_f32_e32 v6, v6, v34
	s_waitcnt vmcnt(0)
	v_mul_f32_e32 v14, v52, v8
	v_add_f32_e32 v20, v23, v39
	v_sub_f32_e32 v39, v22, v25
	v_mov_b32_e32 v26, v16
	v_fmac_f32_e32 v17, 0x3f5db3d7, v38
	v_fmac_f32_e32 v27, 0xbf5db3d7, v38
	v_sub_f32_e32 v38, v42, v43
	v_mov_b32_e32 v10, v36
	v_add_f32_e32 v7, v7, v42
	v_add_f32_e32 v6, v6, v15
	v_fma_f32 v15, v51, v9, -v14
	v_mul_f32_e32 v14, v54, v12
	v_fmac_f32_e32 v16, 0xbf5db3d7, v39
	v_fmac_f32_e32 v26, 0x3f5db3d7, v39
	;; [unrolled: 1-line block ×4, first 2 shown]
	v_add_f32_e32 v7, v7, v43
	v_fma_f32 v34, v53, v13, -v14
	v_mul_f32_e32 v42, v52, v9
	v_mul_f32_e32 v43, v54, v13
	v_mad_u64_u32 v[38:39], s[2:3], s20, v46, 0
	v_add_f32_e32 v14, v15, v34
	v_fmac_f32_e32 v42, v51, v8
	v_fmac_f32_e32 v43, v53, v12
	v_fma_f32 v14, -0.5, v14, v5
	v_add_f32_e32 v8, v42, v43
	v_sub_f32_e32 v12, v42, v43
	v_mov_b32_e32 v9, v14
	v_fma_f32 v13, -0.5, v8, v4
	v_add_f32_e32 v25, v40, v25
	v_fmac_f32_e32 v9, 0xbf5db3d7, v12
	v_sub_f32_e32 v40, v15, v34
	v_mov_b32_e32 v8, v13
	v_fmac_f32_e32 v14, 0x3f5db3d7, v12
	v_add_f32_e32 v12, v5, v15
	v_mov_b32_e32 v5, v39
	v_fmac_f32_e32 v8, 0x3f5db3d7, v40
	v_fmac_f32_e32 v13, 0xbf5db3d7, v40
	v_mad_u64_u32 v[39:40], s[2:3], s21, v46, v[5:6]
	v_add_f32_e32 v4, v4, v42
	v_add_f32_e32 v40, v4, v43
	v_lshlrev_b64 v[4:5], 3, v[30:31]
	v_mov_b32_e32 v23, v19
	v_fmac_f32_e32 v19, 0x3f5db3d7, v41
	v_fmac_f32_e32 v23, 0xbf5db3d7, v41
	v_add_f32_e32 v41, v12, v34
	v_mov_b32_e32 v12, s15
	v_add_co_u32_e32 v15, vcc, s14, v4
	v_addc_co_u32_e32 v12, vcc, v12, v5, vcc
	v_lshlrev_b64 v[4:5], 3, v[28:29]
	v_lshlrev_b64 v[28:29], 3, v[38:39]
	v_add_co_u32_e32 v4, vcc, v15, v4
	v_add_u32_e32 v15, 0xdd, v46
	v_mad_u64_u32 v[30:31], s[2:3], s20, v15, 0
	v_addc_co_u32_e32 v5, vcc, v12, v5, vcc
	v_mov_b32_e32 v12, v31
	v_mad_u64_u32 v[38:39], s[2:3], s21, v15, v[12:13]
	v_add_co_u32_e32 v28, vcc, v4, v28
	v_add_u32_e32 v15, 0x1ba, v46
	v_addc_co_u32_e32 v29, vcc, v5, v29, vcc
	v_mad_u64_u32 v[42:43], s[2:3], s20, v15, 0
	v_mov_b32_e32 v31, v38
	global_store_dwordx2 v[28:29], v[40:41], off
	v_lshlrev_b64 v[28:29], 3, v[30:31]
	v_mov_b32_e32 v12, v43
	v_add_co_u32_e32 v28, vcc, v4, v28
	v_addc_co_u32_e32 v29, vcc, v5, v29, vcc
	v_mad_u64_u32 v[30:31], s[2:3], s21, v15, v[12:13]
	global_store_dwordx2 v[28:29], v[13:14], off
	v_mad_u64_u32 v[14:15], s[2:3], s20, v57, 0
	v_mov_b32_e32 v43, v30
	v_add_u32_e32 v31, 0x110, v46
	v_mad_u64_u32 v[28:29], s[2:3], s21, v57, v[15:16]
	v_lshlrev_b64 v[12:13], 3, v[42:43]
	v_mad_u64_u32 v[29:30], s[2:3], s20, v31, 0
	v_add_co_u32_e32 v12, vcc, v4, v12
	v_addc_co_u32_e32 v13, vcc, v5, v13, vcc
	global_store_dwordx2 v[12:13], v[8:9], off
	v_mov_b32_e32 v12, v30
	v_mov_b32_e32 v15, v28
	v_mad_u64_u32 v[12:13], s[2:3], s21, v31, v[12:13]
	v_lshlrev_b64 v[8:9], 3, v[14:15]
	v_fma_f32 v18, -0.5, v44, v18
	v_add_co_u32_e32 v8, vcc, v4, v8
	v_addc_co_u32_e32 v9, vcc, v5, v9, vcc
	v_mov_b32_e32 v30, v12
	v_add_u32_e32 v12, 0x1ed, v46
	global_store_dwordx2 v[8:9], v[6:7], off
	v_mad_u64_u32 v[8:9], s[2:3], s20, v12, 0
	v_lshlrev_b64 v[6:7], 3, v[29:30]
	v_mov_b32_e32 v22, v18
	v_mad_u64_u32 v[12:13], s[2:3], s21, v12, v[9:10]
	v_mul_hi_u32 v13, v56, s5
	v_add_co_u32_e32 v6, vcc, v4, v6
	v_addc_co_u32_e32 v7, vcc, v5, v7, vcc
	v_mov_b32_e32 v9, v12
	global_store_dwordx2 v[6:7], v[36:37], off
	v_lshlrev_b64 v[6:7], 3, v[8:9]
	v_sub_u32_e32 v8, v56, v13
	v_lshrrev_b32_e32 v8, 1, v8
	v_add_u32_e32 v8, v8, v13
	v_lshrrev_b32_e32 v8, 7, v8
	v_mad_u32_u24 v15, v8, s4, v56
	v_mad_u64_u32 v[8:9], s[2:3], s20, v15, 0
	v_add_u32_e32 v28, 0xdd, v15
	v_add_co_u32_e32 v6, vcc, v4, v6
	v_mad_u64_u32 v[12:13], s[2:3], s21, v15, v[9:10]
	v_mad_u64_u32 v[13:14], s[2:3], s20, v28, 0
	v_addc_co_u32_e32 v7, vcc, v5, v7, vcc
	v_mov_b32_e32 v9, v12
	global_store_dwordx2 v[6:7], v[10:11], off
	v_lshlrev_b64 v[6:7], 3, v[8:9]
	v_mov_b32_e32 v8, v14
	v_mad_u64_u32 v[8:9], s[2:3], s21, v28, v[8:9]
	v_add_u32_e32 v10, 0x1ba, v15
	v_mul_hi_u32 v11, v55, s5
	v_mov_b32_e32 v14, v8
	v_mad_u64_u32 v[8:9], s[2:3], s20, v10, 0
	v_add_co_u32_e32 v6, vcc, v4, v6
	v_mad_u64_u32 v[9:10], s[2:3], s21, v10, v[9:10]
	v_sub_u32_e32 v10, v55, v11
	v_lshrrev_b32_e32 v10, 1, v10
	v_add_u32_e32 v10, v10, v11
	v_lshrrev_b32_e32 v10, 7, v10
	v_addc_co_u32_e32 v7, vcc, v5, v7, vcc
	v_mad_u32_u24 v12, v10, s4, v55
	global_store_dwordx2 v[6:7], v[24:25], off
	v_lshlrev_b64 v[6:7], 3, v[13:14]
	v_mad_u64_u32 v[10:11], s[2:3], s20, v12, 0
	v_add_co_u32_e32 v6, vcc, v4, v6
	v_addc_co_u32_e32 v7, vcc, v5, v7, vcc
	global_store_dwordx2 v[6:7], v[16:17], off
	v_lshlrev_b64 v[6:7], 3, v[8:9]
	v_mov_b32_e32 v8, v11
	v_mad_u64_u32 v[8:9], s[2:3], s21, v12, v[8:9]
	v_add_co_u32_e32 v6, vcc, v4, v6
	v_addc_co_u32_e32 v7, vcc, v5, v7, vcc
	v_mov_b32_e32 v11, v8
	global_store_dwordx2 v[6:7], v[26:27], off
	v_lshlrev_b64 v[6:7], 3, v[10:11]
	v_add_u32_e32 v10, 0xdd, v12
	v_mad_u64_u32 v[8:9], s[2:3], s20, v10, 0
	v_add_u32_e32 v12, 0x1ba, v12
	v_add_co_u32_e32 v6, vcc, v4, v6
	v_mad_u64_u32 v[9:10], s[2:3], s21, v10, v[9:10]
	v_mad_u64_u32 v[10:11], s[2:3], s20, v12, 0
	v_addc_co_u32_e32 v7, vcc, v5, v7, vcc
	global_store_dwordx2 v[6:7], v[20:21], off
	v_lshlrev_b64 v[6:7], 3, v[8:9]
	v_mov_b32_e32 v8, v11
	v_mad_u64_u32 v[8:9], s[2:3], s21, v12, v[8:9]
	v_add_co_u32_e32 v6, vcc, v4, v6
	v_fmac_f32_e32 v18, 0xbf5db3d7, v45
	v_addc_co_u32_e32 v7, vcc, v5, v7, vcc
	v_mov_b32_e32 v11, v8
	global_store_dwordx2 v[6:7], v[18:19], off
	v_lshlrev_b64 v[6:7], 3, v[10:11]
	v_fmac_f32_e32 v22, 0x3f5db3d7, v45
	v_add_co_u32_e32 v6, vcc, v4, v6
	v_addc_co_u32_e32 v7, vcc, v5, v7, vcc
	global_store_dwordx2 v[6:7], v[22:23], off
	s_and_b64 exec, exec, s[0:1]
	s_cbranch_execz .LBB0_18
; %bb.17:
	v_add_u32_e32 v16, 0xcc, v46
	v_subrev_u32_e32 v6, 17, v46
	v_cndmask_b32_e64 v6, v6, v16, s[0:1]
	v_lshlrev_b32_e32 v34, 1, v6
	v_lshlrev_b64 v[6:7], 3, v[34:35]
	v_mov_b32_e32 v8, s9
	v_add_co_u32_e32 v6, vcc, s8, v6
	v_addc_co_u32_e32 v7, vcc, v8, v7, vcc
	global_load_dwordx4 v[6:9], v[6:7], off offset:1632
	v_add_u32_e32 v18, 0x1a9, v46
	v_mad_u64_u32 v[10:11], s[0:1], s20, v16, 0
	v_mad_u64_u32 v[12:13], s[0:1], s20, v18, 0
	v_add_u32_e32 v19, 0x286, v46
	v_mad_u64_u32 v[14:15], s[0:1], s20, v19, 0
	v_mad_u64_u32 v[16:17], s[0:1], s21, v16, v[11:12]
	;; [unrolled: 1-line block ×4, first 2 shown]
	v_mov_b32_e32 v11, v16
	v_lshlrev_b64 v[10:11], 3, v[10:11]
	v_mov_b32_e32 v13, v17
	v_lshlrev_b64 v[12:13], 3, v[12:13]
	v_add_co_u32_e32 v10, vcc, v4, v10
	v_mov_b32_e32 v15, v18
	v_addc_co_u32_e32 v11, vcc, v5, v11, vcc
	v_lshlrev_b64 v[14:15], 3, v[14:15]
	v_add_co_u32_e32 v12, vcc, v4, v12
	v_addc_co_u32_e32 v13, vcc, v5, v13, vcc
	v_add_co_u32_e32 v4, vcc, v4, v14
	v_addc_co_u32_e32 v5, vcc, v5, v15, vcc
	s_waitcnt vmcnt(0)
	v_mul_f32_e32 v14, v3, v7
	v_mul_f32_e32 v7, v2, v7
	;; [unrolled: 1-line block ×4, first 2 shown]
	v_fmac_f32_e32 v14, v2, v6
	v_fma_f32 v2, v3, v6, -v7
	v_fmac_f32_e32 v15, v32, v8
	v_fma_f32 v3, v33, v8, -v9
	v_add_f32_e32 v7, v14, v15
	v_add_f32_e32 v16, v2, v3
	;; [unrolled: 1-line block ×4, first 2 shown]
	v_fmac_f32_e32 v0, -0.5, v7
	v_fmac_f32_e32 v1, -0.5, v16
	v_sub_f32_e32 v8, v2, v3
	v_sub_f32_e32 v14, v14, v15
	v_add_f32_e32 v2, v6, v15
	v_mov_b32_e32 v6, v0
	v_mov_b32_e32 v7, v1
	v_add_f32_e32 v3, v9, v3
	v_fmac_f32_e32 v6, 0xbf5db3d7, v8
	v_fmac_f32_e32 v7, 0x3f5db3d7, v14
	;; [unrolled: 1-line block ×4, first 2 shown]
	global_store_dwordx2 v[10:11], v[2:3], off
	global_store_dwordx2 v[12:13], v[6:7], off
	;; [unrolled: 1-line block ×3, first 2 shown]
.LBB0_18:
	s_endpgm
	.section	.rodata,"a",@progbits
	.p2align	6, 0x0
	.amdhsa_kernel fft_rtc_back_len663_factors_17_13_3_wgs_51_tpt_51_sp_op_CI_CI_sbrr_dirReg
		.amdhsa_group_segment_fixed_size 0
		.amdhsa_private_segment_fixed_size 0
		.amdhsa_kernarg_size 104
		.amdhsa_user_sgpr_count 6
		.amdhsa_user_sgpr_private_segment_buffer 1
		.amdhsa_user_sgpr_dispatch_ptr 0
		.amdhsa_user_sgpr_queue_ptr 0
		.amdhsa_user_sgpr_kernarg_segment_ptr 1
		.amdhsa_user_sgpr_dispatch_id 0
		.amdhsa_user_sgpr_flat_scratch_init 0
		.amdhsa_user_sgpr_private_segment_size 0
		.amdhsa_uses_dynamic_stack 0
		.amdhsa_system_sgpr_private_segment_wavefront_offset 0
		.amdhsa_system_sgpr_workgroup_id_x 1
		.amdhsa_system_sgpr_workgroup_id_y 0
		.amdhsa_system_sgpr_workgroup_id_z 0
		.amdhsa_system_sgpr_workgroup_info 0
		.amdhsa_system_vgpr_workitem_id 0
		.amdhsa_next_free_vgpr 161
		.amdhsa_next_free_sgpr 32
		.amdhsa_reserve_vcc 1
		.amdhsa_reserve_flat_scratch 0
		.amdhsa_float_round_mode_32 0
		.amdhsa_float_round_mode_16_64 0
		.amdhsa_float_denorm_mode_32 3
		.amdhsa_float_denorm_mode_16_64 3
		.amdhsa_dx10_clamp 1
		.amdhsa_ieee_mode 1
		.amdhsa_fp16_overflow 0
		.amdhsa_exception_fp_ieee_invalid_op 0
		.amdhsa_exception_fp_denorm_src 0
		.amdhsa_exception_fp_ieee_div_zero 0
		.amdhsa_exception_fp_ieee_overflow 0
		.amdhsa_exception_fp_ieee_underflow 0
		.amdhsa_exception_fp_ieee_inexact 0
		.amdhsa_exception_int_div_zero 0
	.end_amdhsa_kernel
	.text
.Lfunc_end0:
	.size	fft_rtc_back_len663_factors_17_13_3_wgs_51_tpt_51_sp_op_CI_CI_sbrr_dirReg, .Lfunc_end0-fft_rtc_back_len663_factors_17_13_3_wgs_51_tpt_51_sp_op_CI_CI_sbrr_dirReg
                                        ; -- End function
	.section	.AMDGPU.csdata,"",@progbits
; Kernel info:
; codeLenInByte = 12484
; NumSgprs: 36
; NumVgprs: 161
; ScratchSize: 0
; MemoryBound: 0
; FloatMode: 240
; IeeeMode: 1
; LDSByteSize: 0 bytes/workgroup (compile time only)
; SGPRBlocks: 4
; VGPRBlocks: 40
; NumSGPRsForWavesPerEU: 36
; NumVGPRsForWavesPerEU: 161
; Occupancy: 1
; WaveLimiterHint : 1
; COMPUTE_PGM_RSRC2:SCRATCH_EN: 0
; COMPUTE_PGM_RSRC2:USER_SGPR: 6
; COMPUTE_PGM_RSRC2:TRAP_HANDLER: 0
; COMPUTE_PGM_RSRC2:TGID_X_EN: 1
; COMPUTE_PGM_RSRC2:TGID_Y_EN: 0
; COMPUTE_PGM_RSRC2:TGID_Z_EN: 0
; COMPUTE_PGM_RSRC2:TIDIG_COMP_CNT: 0
	.type	__hip_cuid_34cde18e9d27d3ec,@object ; @__hip_cuid_34cde18e9d27d3ec
	.section	.bss,"aw",@nobits
	.globl	__hip_cuid_34cde18e9d27d3ec
__hip_cuid_34cde18e9d27d3ec:
	.byte	0                               ; 0x0
	.size	__hip_cuid_34cde18e9d27d3ec, 1

	.ident	"AMD clang version 19.0.0git (https://github.com/RadeonOpenCompute/llvm-project roc-6.4.0 25133 c7fe45cf4b819c5991fe208aaa96edf142730f1d)"
	.section	".note.GNU-stack","",@progbits
	.addrsig
	.addrsig_sym __hip_cuid_34cde18e9d27d3ec
	.amdgpu_metadata
---
amdhsa.kernels:
  - .args:
      - .actual_access:  read_only
        .address_space:  global
        .offset:         0
        .size:           8
        .value_kind:     global_buffer
      - .offset:         8
        .size:           8
        .value_kind:     by_value
      - .actual_access:  read_only
        .address_space:  global
        .offset:         16
        .size:           8
        .value_kind:     global_buffer
      - .actual_access:  read_only
        .address_space:  global
        .offset:         24
        .size:           8
        .value_kind:     global_buffer
      - .actual_access:  read_only
        .address_space:  global
        .offset:         32
        .size:           8
        .value_kind:     global_buffer
      - .offset:         40
        .size:           8
        .value_kind:     by_value
      - .actual_access:  read_only
        .address_space:  global
        .offset:         48
        .size:           8
        .value_kind:     global_buffer
      - .actual_access:  read_only
        .address_space:  global
        .offset:         56
        .size:           8
        .value_kind:     global_buffer
      - .offset:         64
        .size:           4
        .value_kind:     by_value
      - .actual_access:  read_only
        .address_space:  global
        .offset:         72
        .size:           8
        .value_kind:     global_buffer
      - .actual_access:  read_only
        .address_space:  global
        .offset:         80
        .size:           8
        .value_kind:     global_buffer
      - .actual_access:  read_only
        .address_space:  global
        .offset:         88
        .size:           8
        .value_kind:     global_buffer
      - .actual_access:  write_only
        .address_space:  global
        .offset:         96
        .size:           8
        .value_kind:     global_buffer
    .group_segment_fixed_size: 0
    .kernarg_segment_align: 8
    .kernarg_segment_size: 104
    .language:       OpenCL C
    .language_version:
      - 2
      - 0
    .max_flat_workgroup_size: 51
    .name:           fft_rtc_back_len663_factors_17_13_3_wgs_51_tpt_51_sp_op_CI_CI_sbrr_dirReg
    .private_segment_fixed_size: 0
    .sgpr_count:     36
    .sgpr_spill_count: 0
    .symbol:         fft_rtc_back_len663_factors_17_13_3_wgs_51_tpt_51_sp_op_CI_CI_sbrr_dirReg.kd
    .uniform_work_group_size: 1
    .uses_dynamic_stack: false
    .vgpr_count:     161
    .vgpr_spill_count: 0
    .wavefront_size: 64
amdhsa.target:   amdgcn-amd-amdhsa--gfx906
amdhsa.version:
  - 1
  - 2
...

	.end_amdgpu_metadata
